;; amdgpu-corpus repo=ggml-org/llama.cpp kind=compiled arch=gfx1250 opt=O3
	.amdgcn_target "amdgcn-amd-amdhsa--gfx1250"
	.amdhsa_code_object_version 6
	.section	.text._ZL25dequantize_block_q8_0_f16ILb0EEvPKvP6__halfl,"axG",@progbits,_ZL25dequantize_block_q8_0_f16ILb0EEvPKvP6__halfl,comdat
	.globl	_ZL25dequantize_block_q8_0_f16ILb0EEvPKvP6__halfl ; -- Begin function _ZL25dequantize_block_q8_0_f16ILb0EEvPKvP6__halfl
	.p2align	8
	.type	_ZL25dequantize_block_q8_0_f16ILb0EEvPKvP6__halfl,@function
_ZL25dequantize_block_q8_0_f16ILb0EEvPKvP6__halfl: ; @_ZL25dequantize_block_q8_0_f16ILb0EEvPKvP6__halfl
; %bb.0:
	s_load_b128 s[0:3], s[0:1], 0x0
	s_bfe_u32 s4, ttmp6, 0x4000c
	s_and_b32 s5, ttmp6, 15
	s_add_co_i32 s4, s4, 1
	s_getreg_b32 s6, hwreg(HW_REG_IB_STS2, 6, 4)
	s_mul_i32 s4, ttmp9, s4
	s_mov_b32 s7, 0
	s_add_co_i32 s5, s5, s4
	s_cmp_eq_u32 s6, 0
	v_dual_lshlrev_b32 v2, 1, v0 :: v_dual_bitop2_b32 v1, 15, v0 bitop3:0x40
	s_cselect_b32 s4, ttmp9, s5
	v_dual_lshlrev_b32 v6, 2, v0 :: v_dual_lshrrev_b32 v23, 4, v0
	s_mul_i32 s6, s4, 0x220
	s_delay_alu instid0(VALU_DEP_2)
	v_dual_lshlrev_b32 v1, 1, v1 :: v_dual_add_nc_u32 v24, 64, v2
	s_lshl_b64 s[8:9], s[6:7], 2
	v_add_nc_u32_e32 v25, 0x80, v2
	v_add_nc_u32_e32 v26, 0xc0, v2
	s_wait_kmcnt 0x0
	s_add_nc_u64 s[0:1], s[0:1], s[8:9]
	v_add_nc_u32_e32 v27, 0x100, v2
	s_clause 0x10
	global_load_b32 v19, v0, s[0:1] offset:1024 scale_offset
	global_load_b32 v21, v0, s[0:1] offset:1152 scale_offset
	;; [unrolled: 1-line block ×8, first 2 shown]
	global_load_b32 v11, v0, s[0:1] scale_offset
	global_load_b32 v12, v0, s[0:1] offset:128 scale_offset
	global_load_b32 v9, v0, s[0:1] offset:256 scale_offset
	;; [unrolled: 1-line block ×8, first 2 shown]
	v_add_nc_u32_e32 v29, 0x140, v2
	v_add_nc_u32_e32 v30, 0x180, v2
	;; [unrolled: 1-line block ×21, first 2 shown]
	v_dual_lshrrev_b32 v52, 5, v24 :: v_dual_lshrrev_b32 v25, 5, v25
	v_add_nc_u32_e32 v50, 0x680, v2
	v_add_nc_u32_e32 v22, 0x400, v6
	v_dual_lshrrev_b32 v26, 5, v26 :: v_dual_lshrrev_b32 v27, 5, v27
	v_dual_lshrrev_b32 v29, 5, v29 :: v_dual_lshrrev_b32 v30, 5, v30
	;; [unrolled: 1-line block ×11, first 2 shown]
	v_mul_u32_u24_e32 v15, 34, v23
	v_mad_u32_u24 v51, v23, 34, v1
	v_dual_lshrrev_b32 v24, 5, v49 :: v_dual_lshrrev_b32 v23, 5, v50
	v_mul_u32_u24_e32 v49, 34, v52
	v_mad_u32_u24 v50, v52, 34, v1
	v_mul_u32_u24_e32 v52, 34, v25
	v_mad_u32_u24 v25, v25, 34, v1
	;; [unrolled: 2-line block ×9, first 2 shown]
	s_wait_xcnt 0x0
	s_mov_b32 s1, s7
	s_lshl_b32 s0, s4, 11
	v_add_nc_u32_e32 v28, 0x6c0, v2
	s_lshl_b64 s[0:1], s[0:1], 1
	s_delay_alu instid0(SALU_CYCLE_1)
	s_add_nc_u64 s[0:1], s[2:3], s[0:1]
	s_wait_loadcnt 0xf
	ds_store_2addr_b32 v22, v19, v21 offset1:32
	v_mul_u32_u24_e32 v19, 34, v34
	v_mad_u32_u24 v21, v34, 34, v1
	v_mul_u32_u24_e32 v34, 34, v35
	v_mad_u32_u24 v35, v35, 34, v1
	s_wait_loadcnt 0xd
	ds_store_2addr_b32 v22, v18, v20 offset0:64 offset1:96
	v_mul_u32_u24_e32 v18, 34, v36
	v_mad_u32_u24 v20, v36, 34, v1
	v_mul_u32_u24_e32 v36, 34, v37
	v_mad_u32_u24 v37, v37, 34, v1
	s_wait_loadcnt 0xb
	ds_store_2addr_b32 v22, v16, v17 offset0:128 offset1:160
	;; [unrolled: 6-line block ×3, first 2 shown]
	v_mul_u32_u24_e32 v13, 34, v40
	v_mad_u32_u24 v14, v40, 34, v1
	v_mul_u32_u24_e32 v22, 34, v41
	v_mad_u32_u24 v40, v41, 34, v1
	;; [unrolled: 2-line block ×3, first 2 shown]
	s_wait_loadcnt 0x7
	ds_store_2addr_b32 v6, v11, v12 offset1:32
	v_mul_u32_u24_e32 v11, 34, v43
	v_mad_u32_u24 v12, v43, 34, v1
	v_mul_u32_u24_e32 v43, 34, v44
	v_mad_u32_u24 v44, v44, 34, v1
	s_wait_loadcnt 0x5
	ds_store_2addr_b32 v6, v9, v10 offset0:64 offset1:96
	v_mul_u32_u24_e32 v9, 34, v45
	v_mad_u32_u24 v10, v45, 34, v1
	v_mul_u32_u24_e32 v45, 34, v46
	v_mad_u32_u24 v46, v46, 34, v1
	s_wait_loadcnt 0x3
	ds_store_2addr_b32 v6, v7, v8 offset0:128 offset1:160
	;; [unrolled: 6-line block ×3, first 2 shown]
	s_wait_loadcnt 0x0
	ds_store_b32 v6, v5 offset:2048
	s_wait_dscnt 0x0
	s_barrier_signal -1
	s_barrier_wait -1
	ds_load_u16 v3, v15
	ds_load_u16 v4, v51 offset:2
	ds_load_u16 v5, v49
	ds_load_u16 v6, v50 offset:2
	;; [unrolled: 2-line block ×25, first 2 shown]
	s_wait_dscnt 0x2a
	v_bfe_i32 v59, v26, 0, 8
	v_ashrrev_i16 v26, 8, v26
	v_bfe_i32 v56, v4, 0, 8
	v_ashrrev_i16 v4, 8, v4
	v_bfe_i32 v57, v6, 0, 8
	v_cvt_f16_i16_e32 v59, v59
	v_cvt_f16_i16_e32 v26, v26
	v_ashrrev_i16 v6, 8, v6
	v_bfe_i32 v58, v25, 0, 8
	v_ashrrev_i16 v25, 8, v25
	v_cvt_f16_i16_e32 v4, v4
	v_pack_b32_f16 v26, v59, v26
	s_wait_dscnt 0x22
	v_bfe_i32 v59, v31, 0, 8
	v_ashrrev_i16 v31, 8, v31
	v_cvt_f16_i16_e32 v56, v56
	v_cvt_f16_i16_e32 v6, v6
	v_cvt_f16_i16_e32 v57, v57
	v_cvt_f16_i16_e32 v25, v25
	v_cvt_f16_i16_e32 v58, v58
	v_cvt_f16_i16_e32 v31, v31
	v_cvt_f16_i16_e32 v59, v59
	v_pack_b32_f16 v4, v56, v4
	v_bfe_i32 v56, v27, 0, 8
	v_ashrrev_i16 v27, 8, v27
	v_pack_b32_f16 v6, v57, v6
	v_bfe_i32 v57, v29, 0, 8
	v_ashrrev_i16 v29, 8, v29
	;; [unrolled: 3-line block ×3, first 2 shown]
	v_pack_b32_f16 v31, v59, v31
	s_wait_dscnt 0x1a
	v_bfe_i32 v59, v35, 0, 8
	v_ashrrev_i16 v35, 8, v35
	v_cvt_f16_i16_e32 v27, v27
	v_cvt_f16_i16_e32 v56, v56
	;; [unrolled: 1-line block ×8, first 2 shown]
	v_pack_b32_f16 v27, v56, v27
	v_bfe_i32 v56, v32, 0, 8
	v_ashrrev_i16 v32, 8, v32
	v_pack_b32_f16 v29, v57, v29
	v_bfe_i32 v57, v33, 0, 8
	v_ashrrev_i16 v33, 8, v33
	v_pack_b32_f16 v30, v58, v30
	v_bfe_i32 v58, v21, 0, 8
	v_ashrrev_i16 v21, 8, v21
	v_pack_b32_f16 v35, v59, v35
	s_wait_dscnt 0x12
	v_bfe_i32 v59, v39, 0, 8
	v_ashrrev_i16 v39, 8, v39
	v_cvt_f16_i16_e32 v32, v32
	v_cvt_f16_i16_e32 v56, v56
	;; [unrolled: 1-line block ×8, first 2 shown]
	v_pack_b32_f16 v32, v56, v32
	v_bfe_i32 v56, v20, 0, 8
	v_ashrrev_i16 v20, 8, v20
	v_pack_b32_f16 v33, v57, v33
	v_bfe_i32 v57, v37, 0, 8
	v_ashrrev_i16 v37, 8, v37
	;; [unrolled: 3-line block ×3, first 2 shown]
	v_pack_b32_f16 v39, v59, v39
	s_wait_dscnt 0xa
	v_bfe_i32 v59, v12, 0, 8
	v_ashrrev_i16 v12, 8, v12
	v_mul_u32_u24_e32 v3, 0x10001, v3
	v_cvt_f16_i16_e32 v20, v20
	v_cvt_f16_i16_e32 v56, v56
	;; [unrolled: 1-line block ×6, first 2 shown]
	v_mul_u32_u24_e32 v5, 0x10001, v5
	v_mul_u32_u24_e32 v15, 0x10001, v15
	v_mul_u32_u24_e32 v49, 0x10001, v49
	v_mul_u32_u24_e32 v50, 0x10001, v50
	v_cvt_f16_i16_e32 v12, v12
	v_cvt_f16_i16_e32 v59, v59
	v_mul_u32_u24_e32 v51, 0x10001, v51
	v_mul_u32_u24_e32 v52, 0x10001, v52
	v_mul_u32_u24_e32 v53, 0x10001, v53
	v_mul_u32_u24_e32 v54, 0x10001, v54
	v_mul_u32_u24_e32 v55, 0x10001, v55
	v_mul_u32_u24_e32 v19, 0x10001, v19
	v_mul_u32_u24_e32 v34, 0x10001, v34
	v_mul_u32_u24_e32 v18, 0x10001, v18
	v_mul_u32_u24_e32 v36, 0x10001, v36
	v_mul_u32_u24_e32 v16, 0x10001, v16
	v_mul_u32_u24_e32 v38, 0x10001, v38
	v_pack_b32_f16 v20, v56, v20
	v_pack_b32_f16 v37, v57, v37
	;; [unrolled: 1-line block ×3, first 2 shown]
	v_pk_mul_f16 v3, v4, v3
	v_bfe_i32 v56, v14, 0, 8
	v_ashrrev_i16 v14, 8, v14
	v_bfe_i32 v57, v40, 0, 8
	v_ashrrev_i16 v40, 8, v40
	v_pk_mul_f16 v4, v6, v5
	v_bfe_i32 v58, v42, 0, 8
	v_ashrrev_i16 v42, 8, v42
	v_pk_mul_f16 v5, v25, v15
	v_pk_mul_f16 v6, v26, v49
	v_mul_u32_u24_e32 v11, 0x10001, v11
	v_pack_b32_f16 v12, v59, v12
	v_pk_mul_f16 v15, v27, v50
	v_pk_mul_f16 v25, v29, v51
	;; [unrolled: 1-line block ×12, first 2 shown]
	s_clause 0xf
	global_store_b32 v0, v3, s[0:1] scale_offset
	global_store_b32 v0, v4, s[0:1] offset:128 scale_offset
	global_store_b32 v0, v5, s[0:1] offset:256 scale_offset
	;; [unrolled: 1-line block ×15, first 2 shown]
	s_wait_xcnt 0xf
	v_lshrrev_b32_e32 v3, 5, v28
	v_cvt_f16_i16_e32 v14, v14
	v_cvt_f16_i16_e32 v56, v56
	;; [unrolled: 1-line block ×4, first 2 shown]
	s_wait_xcnt 0xe
	v_mul_u32_u24_e32 v4, 34, v24
	v_cvt_f16_i16_e32 v42, v42
	v_cvt_f16_i16_e32 v58, v58
	s_wait_dscnt 0x2
	v_bfe_i32 v59, v8, 0, 8
	v_ashrrev_i16 v8, 8, v8
	s_wait_xcnt 0xd
	v_mad_u32_u24 v5, v24, 34, v1
	s_wait_xcnt 0xc
	v_mul_u32_u24_e32 v6, 34, v23
	v_pk_mul_f16 v11, v12, v11
	v_mad_u32_u24 v12, v23, 34, v1
	s_wait_xcnt 0xb
	v_mul_u32_u24_e32 v15, 34, v3
	v_mad_u32_u24 v3, v3, 34, v1
	v_pack_b32_f16 v14, v56, v14
	v_bfe_i32 v56, v44, 0, 8
	v_ashrrev_i16 v44, 8, v44
	v_pack_b32_f16 v40, v57, v40
	v_bfe_i32 v57, v10, 0, 8
	v_ashrrev_i16 v10, 8, v10
	ds_load_u16 v4, v4
	ds_load_u16 v5, v5 offset:2
	ds_load_u16 v6, v6
	ds_load_u16 v12, v12 offset:2
	;; [unrolled: 2-line block ×3, first 2 shown]
	v_pack_b32_f16 v42, v58, v42
	v_bfe_i32 v58, v46, 0, 8
	v_ashrrev_i16 v46, 8, v46
	v_cvt_f16_i16_e32 v8, v8
	v_cvt_f16_i16_e32 v59, v59
	s_wait_dscnt 0x6
	s_wait_xcnt 0x1
	v_ashrrev_i16 v16, 8, v48
	s_wait_xcnt 0x0
	v_bfe_i32 v17, v48, 0, 8
	v_cvt_f16_i16_e32 v44, v44
	v_cvt_f16_i16_e32 v56, v56
	;; [unrolled: 1-line block ×4, first 2 shown]
	v_mul_u32_u24_e32 v13, 0x10001, v13
	v_cvt_f16_i16_e32 v46, v46
	v_cvt_f16_i16_e32 v58, v58
	v_pack_b32_f16 v8, v59, v8
	v_mul_u32_u24_e32 v7, 0x10001, v7
	v_cvt_f16_i16_e32 v16, v16
	v_cvt_f16_i16_e32 v17, v17
	v_mul_u32_u24_e32 v22, 0x10001, v22
	v_mul_u32_u24_e32 v41, 0x10001, v41
	;; [unrolled: 1-line block ×4, first 2 shown]
	v_pack_b32_f16 v44, v56, v44
	v_pack_b32_f16 v10, v57, v10
	;; [unrolled: 1-line block ×3, first 2 shown]
	v_pk_mul_f16 v13, v14, v13
	v_mul_u32_u24_e32 v18, 0x10001, v45
	v_pk_mul_f16 v7, v8, v7
	v_pack_b32_f16 v8, v17, v16
	v_mul_u32_u24_e32 v16, 0x10001, v47
	v_pk_mul_f16 v14, v40, v22
	v_pk_mul_f16 v22, v42, v41
	;; [unrolled: 1-line block ×5, first 2 shown]
	s_clause 0x7
	global_store_b32 v0, v13, s[0:1] offset:2048 scale_offset
	global_store_b32 v0, v14, s[0:1] offset:2176 scale_offset
	;; [unrolled: 1-line block ×8, first 2 shown]
	s_wait_xcnt 0x0
	v_pk_mul_f16 v7, v8, v16
	s_wait_dscnt 0x4
	v_ashrrev_i16 v8, 8, v5
	v_bfe_i32 v5, v5, 0, 8
	v_add_nc_u32_e32 v9, 0x700, v2
	s_wait_dscnt 0x2
	v_ashrrev_i16 v10, 8, v12
	v_bfe_i32 v11, v12, 0, 8
	v_cvt_f16_i16_e32 v8, v8
	v_cvt_f16_i16_e32 v5, v5
	v_lshrrev_b32_e32 v9, 5, v9
	v_cvt_f16_i16_e32 v10, v10
	v_cvt_f16_i16_e32 v11, v11
	v_add_nc_u32_e32 v12, 0x740, v2
	v_pack_b32_f16 v5, v5, v8
	v_mad_u32_u24 v8, v9, 34, v1
	v_mul_u32_u24_e32 v9, 34, v9
	v_pack_b32_f16 v10, v11, v10
	v_lshrrev_b32_e32 v11, 5, v12
	v_add_nc_u32_e32 v12, 0x780, v2
	v_add_nc_u32_e32 v2, 0x7c0, v2
	ds_load_u16 v8, v8 offset:2
	v_mul_u32_u24_e32 v4, 0x10001, v4
	s_wait_dscnt 0x1
	v_ashrrev_i16 v13, 8, v3
	v_dual_lshrrev_b32 v12, 5, v12 :: v_dual_lshrrev_b32 v2, 5, v2
	v_mad_u32_u24 v14, v11, 34, v1
	v_mul_u32_u24_e32 v11, 34, v11
	v_bfe_i32 v3, v3, 0, 8
	s_delay_alu instid0(VALU_DEP_4)
	v_mul_u32_u24_e32 v16, 34, v12
	v_mad_u32_u24 v12, v12, 34, v1
	v_mul_u32_u24_e32 v17, 34, v2
	v_mad_u32_u24 v1, v2, 34, v1
	ds_load_u16 v14, v14 offset:2
	ds_load_u16 v2, v9
	ds_load_u16 v9, v11
	;; [unrolled: 1-line block ×3, first 2 shown]
	ds_load_u16 v12, v12 offset:2
	ds_load_u16 v16, v17
	ds_load_u16 v1, v1 offset:2
	v_mul_u32_u24_e32 v6, 0x10001, v6
	v_cvt_f16_i16_e32 v13, v13
	v_cvt_f16_i16_e32 v3, v3
	v_pk_mul_f16 v4, v5, v4
	s_delay_alu instid0(VALU_DEP_4)
	v_pk_mul_f16 v6, v10, v6
	s_wait_dscnt 0x7
	v_ashrrev_i16 v17, 8, v8
	v_bfe_i32 v8, v8, 0, 8
	v_pack_b32_f16 v3, v3, v13
	v_mul_u32_u24_e32 v13, 0x10001, v15
	s_delay_alu instid0(VALU_DEP_4) | instskip(NEXT) | instid1(VALU_DEP_4)
	v_cvt_f16_i16_e32 v5, v17
	v_cvt_f16_i16_e32 v8, v8
	s_wait_dscnt 0x5
	v_mul_u32_u24_e32 v2, 0x10001, v2
	s_wait_dscnt 0x4
	v_mul_u32_u24_e32 v9, 0x10001, v9
	;; [unrolled: 2-line block ×3, first 2 shown]
	v_pack_b32_f16 v5, v8, v5
	v_ashrrev_i16 v10, 8, v14
	v_bfe_i32 v8, v14, 0, 8
	s_wait_dscnt 0x2
	v_ashrrev_i16 v14, 8, v12
	v_bfe_i32 v12, v12, 0, 8
	s_wait_dscnt 0x0
	v_ashrrev_i16 v15, 8, v1
	v_bfe_i32 v1, v1, 0, 8
	v_cvt_f16_i16_e32 v10, v10
	v_cvt_f16_i16_e32 v8, v8
	;; [unrolled: 1-line block ×6, first 2 shown]
	v_pack_b32_f16 v8, v8, v10
	v_pk_mul_f16 v3, v3, v13
	v_pack_b32_f16 v10, v12, v14
	v_mul_u32_u24_e32 v12, 0x10001, v16
	v_pack_b32_f16 v1, v1, v15
	v_pk_mul_f16 v2, v5, v2
	v_pk_mul_f16 v5, v8, v9
	;; [unrolled: 1-line block ×3, first 2 shown]
	s_delay_alu instid0(VALU_DEP_4)
	v_pk_mul_f16 v1, v1, v12
	s_clause 0x7
	global_store_b32 v0, v7, s[0:1] offset:3072 scale_offset
	global_store_b32 v0, v4, s[0:1] offset:3200 scale_offset
	;; [unrolled: 1-line block ×8, first 2 shown]
	s_endpgm
	.section	.rodata,"a",@progbits
	.p2align	6, 0x0
	.amdhsa_kernel _ZL25dequantize_block_q8_0_f16ILb0EEvPKvP6__halfl
		.amdhsa_group_segment_fixed_size 2176
		.amdhsa_private_segment_fixed_size 0
		.amdhsa_kernarg_size 24
		.amdhsa_user_sgpr_count 2
		.amdhsa_user_sgpr_dispatch_ptr 0
		.amdhsa_user_sgpr_queue_ptr 0
		.amdhsa_user_sgpr_kernarg_segment_ptr 1
		.amdhsa_user_sgpr_dispatch_id 0
		.amdhsa_user_sgpr_kernarg_preload_length 0
		.amdhsa_user_sgpr_kernarg_preload_offset 0
		.amdhsa_user_sgpr_private_segment_size 0
		.amdhsa_wavefront_size32 1
		.amdhsa_uses_dynamic_stack 0
		.amdhsa_enable_private_segment 0
		.amdhsa_system_sgpr_workgroup_id_x 1
		.amdhsa_system_sgpr_workgroup_id_y 0
		.amdhsa_system_sgpr_workgroup_id_z 0
		.amdhsa_system_sgpr_workgroup_info 0
		.amdhsa_system_vgpr_workitem_id 0
		.amdhsa_next_free_vgpr 60
		.amdhsa_next_free_sgpr 10
		.amdhsa_named_barrier_count 0
		.amdhsa_reserve_vcc 0
		.amdhsa_float_round_mode_32 0
		.amdhsa_float_round_mode_16_64 0
		.amdhsa_float_denorm_mode_32 3
		.amdhsa_float_denorm_mode_16_64 3
		.amdhsa_fp16_overflow 0
		.amdhsa_memory_ordered 1
		.amdhsa_forward_progress 1
		.amdhsa_inst_pref_size 30
		.amdhsa_round_robin_scheduling 0
		.amdhsa_exception_fp_ieee_invalid_op 0
		.amdhsa_exception_fp_denorm_src 0
		.amdhsa_exception_fp_ieee_div_zero 0
		.amdhsa_exception_fp_ieee_overflow 0
		.amdhsa_exception_fp_ieee_underflow 0
		.amdhsa_exception_fp_ieee_inexact 0
		.amdhsa_exception_int_div_zero 0
	.end_amdhsa_kernel
	.section	.text._ZL25dequantize_block_q8_0_f16ILb0EEvPKvP6__halfl,"axG",@progbits,_ZL25dequantize_block_q8_0_f16ILb0EEvPKvP6__halfl,comdat
.Lfunc_end0:
	.size	_ZL25dequantize_block_q8_0_f16ILb0EEvPKvP6__halfl, .Lfunc_end0-_ZL25dequantize_block_q8_0_f16ILb0EEvPKvP6__halfl
                                        ; -- End function
	.set _ZL25dequantize_block_q8_0_f16ILb0EEvPKvP6__halfl.num_vgpr, 60
	.set _ZL25dequantize_block_q8_0_f16ILb0EEvPKvP6__halfl.num_agpr, 0
	.set _ZL25dequantize_block_q8_0_f16ILb0EEvPKvP6__halfl.numbered_sgpr, 10
	.set _ZL25dequantize_block_q8_0_f16ILb0EEvPKvP6__halfl.num_named_barrier, 0
	.set _ZL25dequantize_block_q8_0_f16ILb0EEvPKvP6__halfl.private_seg_size, 0
	.set _ZL25dequantize_block_q8_0_f16ILb0EEvPKvP6__halfl.uses_vcc, 0
	.set _ZL25dequantize_block_q8_0_f16ILb0EEvPKvP6__halfl.uses_flat_scratch, 0
	.set _ZL25dequantize_block_q8_0_f16ILb0EEvPKvP6__halfl.has_dyn_sized_stack, 0
	.set _ZL25dequantize_block_q8_0_f16ILb0EEvPKvP6__halfl.has_recursion, 0
	.set _ZL25dequantize_block_q8_0_f16ILb0EEvPKvP6__halfl.has_indirect_call, 0
	.section	.AMDGPU.csdata,"",@progbits
; Kernel info:
; codeLenInByte = 3832
; TotalNumSgprs: 10
; NumVgprs: 60
; ScratchSize: 0
; MemoryBound: 0
; FloatMode: 240
; IeeeMode: 1
; LDSByteSize: 2176 bytes/workgroup (compile time only)
; SGPRBlocks: 0
; VGPRBlocks: 3
; NumSGPRsForWavesPerEU: 10
; NumVGPRsForWavesPerEU: 60
; NamedBarCnt: 0
; Occupancy: 16
; WaveLimiterHint : 1
; COMPUTE_PGM_RSRC2:SCRATCH_EN: 0
; COMPUTE_PGM_RSRC2:USER_SGPR: 2
; COMPUTE_PGM_RSRC2:TRAP_HANDLER: 0
; COMPUTE_PGM_RSRC2:TGID_X_EN: 1
; COMPUTE_PGM_RSRC2:TGID_Y_EN: 0
; COMPUTE_PGM_RSRC2:TGID_Z_EN: 0
; COMPUTE_PGM_RSRC2:TIDIG_COMP_CNT: 0
	.section	.text._ZL25dequantize_block_q8_0_f16ILb1EEvPKvP6__halfl,"axG",@progbits,_ZL25dequantize_block_q8_0_f16ILb1EEvPKvP6__halfl,comdat
	.globl	_ZL25dequantize_block_q8_0_f16ILb1EEvPKvP6__halfl ; -- Begin function _ZL25dequantize_block_q8_0_f16ILb1EEvPKvP6__halfl
	.p2align	8
	.type	_ZL25dequantize_block_q8_0_f16ILb1EEvPKvP6__halfl,@function
_ZL25dequantize_block_q8_0_f16ILb1EEvPKvP6__halfl: ; @_ZL25dequantize_block_q8_0_f16ILb1EEvPKvP6__halfl
; %bb.0:
	s_bfe_u32 s4, ttmp6, 0x4000c
	s_load_b64 s[2:3], s[0:1], 0x10
	s_add_co_i32 s4, s4, 1
	s_and_b32 s5, ttmp6, 15
	s_mul_i32 s4, ttmp9, s4
	s_getreg_b32 s6, hwreg(HW_REG_IB_STS2, 6, 4)
	s_add_co_i32 s5, s5, s4
	s_cmp_eq_u32 s6, 0
	v_dual_mov_b32 v3, 0 :: v_dual_lshlrev_b32 v4, 2, v0
	s_cselect_b32 s10, ttmp9, s5
	s_mov_b32 s5, 0
	s_lshl_b32 s4, s10, 11
	s_delay_alu instid0(VALU_DEP_1)
	v_mov_b32_e32 v5, v3
	s_mul_u64 s[6:7], s[4:5], 34
	s_mov_b32 s12, exec_lo
	s_lshr_b64 s[6:7], s[6:7], 5
	s_delay_alu instid0(VALU_DEP_1) | instid1(SALU_CYCLE_1)
	v_add_nc_u64_e32 v[6:7], s[6:7], v[4:5]
	s_wait_kmcnt 0x0
	s_mul_u64 s[8:9], s[2:3], 34
	s_delay_alu instid0(SALU_CYCLE_1)
	s_lshr_b64 s[8:9], s[8:9], 5
	s_delay_alu instid0(VALU_DEP_1) | instid1(SALU_CYCLE_1)
	v_cmpx_gt_u64_e64 s[8:9], v[6:7]
	s_cbranch_execz .LBB1_18
; %bb.1:
	s_load_b64 s[14:15], s[0:1], 0x0
	s_mulk_i32 s10, 0x220
	s_mov_b32 s11, s5
	v_add_nc_u32_e32 v2, 0x80, v4
	s_lshl_b64 s[10:11], s[10:11], 2
	s_delay_alu instid0(VALU_DEP_1) | instskip(NEXT) | instid1(VALU_DEP_1)
	v_add_nc_u64_e32 v[6:7], s[6:7], v[2:3]
	v_cmp_gt_u64_e32 vcc_lo, s[8:9], v[6:7]
	s_wait_kmcnt 0x0
	s_add_nc_u64 s[10:11], s[14:15], s[10:11]
	global_load_b32 v1, v0, s[10:11] scale_offset
	s_wait_loadcnt 0x0
	ds_store_b32 v4, v1
	s_and_b32 exec_lo, exec_lo, vcc_lo
	s_cbranch_execz .LBB1_18
; %bb.2:
	v_add_nc_u64_e32 v[6:7], s[10:11], v[4:5]
	v_lshl_add_u32 v8, v0, 2, 0x100
	v_mov_b32_e32 v9, 0
	s_delay_alu instid0(VALU_DEP_1)
	v_add_nc_u64_e32 v[10:11], s[6:7], v[8:9]
	global_load_b32 v1, v[6:7], off offset:128
	v_cmp_gt_u64_e32 vcc_lo, s[8:9], v[10:11]
	s_wait_loadcnt 0x0
	ds_store_b32 v4, v1 offset:128
	s_and_b32 exec_lo, exec_lo, vcc_lo
	s_cbranch_execz .LBB1_18
; %bb.3:
	global_load_b32 v1, v[6:7], off offset:256
	v_lshl_add_u32 v8, v0, 2, 0x180
	s_delay_alu instid0(VALU_DEP_1) | instskip(NEXT) | instid1(VALU_DEP_1)
	v_add_nc_u64_e32 v[8:9], s[6:7], v[8:9]
	v_cmp_gt_u64_e32 vcc_lo, s[8:9], v[8:9]
	s_wait_loadcnt 0x0
	ds_store_b32 v4, v1 offset:256
	s_and_b32 exec_lo, exec_lo, vcc_lo
	s_cbranch_execz .LBB1_18
; %bb.4:
	global_load_b32 v1, v[6:7], off offset:384
	v_lshl_add_u32 v8, v0, 2, 0x200
	v_mov_b32_e32 v9, 0
	s_delay_alu instid0(VALU_DEP_1) | instskip(NEXT) | instid1(VALU_DEP_1)
	v_add_nc_u64_e32 v[10:11], s[6:7], v[8:9]
	v_cmp_gt_u64_e32 vcc_lo, s[8:9], v[10:11]
	s_wait_loadcnt 0x0
	ds_store_b32 v4, v1 offset:384
	s_and_b32 exec_lo, exec_lo, vcc_lo
	s_cbranch_execz .LBB1_18
; %bb.5:
	global_load_b32 v1, v[6:7], off offset:512
	v_lshl_add_u32 v8, v0, 2, 0x280
	s_delay_alu instid0(VALU_DEP_1) | instskip(NEXT) | instid1(VALU_DEP_1)
	v_add_nc_u64_e32 v[8:9], s[6:7], v[8:9]
	v_cmp_gt_u64_e32 vcc_lo, s[8:9], v[8:9]
	s_wait_loadcnt 0x0
	ds_store_b32 v4, v1 offset:512
	s_and_b32 exec_lo, exec_lo, vcc_lo
	s_cbranch_execz .LBB1_18
; %bb.6:
	global_load_b32 v1, v[6:7], off offset:640
	v_lshl_add_u32 v8, v0, 2, 0x300
	v_mov_b32_e32 v9, 0
	s_delay_alu instid0(VALU_DEP_1) | instskip(NEXT) | instid1(VALU_DEP_1)
	v_add_nc_u64_e32 v[10:11], s[6:7], v[8:9]
	;; [unrolled: 21-line block ×7, first 2 shown]
	v_cmp_gt_u64_e32 vcc_lo, s[8:9], v[8:9]
	s_wait_loadcnt 0x0
	ds_store_b32 v4, v1 offset:1920
	s_and_b32 exec_lo, exec_lo, vcc_lo
	s_cbranch_execz .LBB1_18
; %bb.17:
	global_load_b32 v1, v[6:7], off offset:2048
	s_wait_loadcnt 0x0
	ds_store_b32 v4, v1 offset:2048
.LBB1_18:
	s_or_b32 exec_lo, exec_lo, s12
	v_dual_mov_b32 v7, v3 :: v_dual_lshlrev_b32 v2, 1, v0
	s_wait_dscnt 0x0
	s_barrier_signal -1
	s_barrier_wait -1
	s_delay_alu instid0(VALU_DEP_1) | instskip(SKIP_1) | instid1(VALU_DEP_1)
	v_or_b32_e32 v6, s4, v2
	s_mov_b32 s6, exec_lo
	v_cmpx_gt_i64_e64 s[2:3], v[6:7]
	s_cbranch_execz .LBB1_51
; %bb.19:
	v_dual_lshrrev_b32 v5, 4, v0 :: v_dual_bitop2_b32 v1, 15, v0 bitop3:0x40
	s_load_b64 s[6:7], s[0:1], 0x8
	s_wait_xcnt 0x0
	s_mov_b32 s1, 0
	s_or_b32 s0, s4, 64
	v_lshlrev_b32_e32 v6, 1, v1
	v_add_nc_u64_e32 v[8:9], s[0:1], v[2:3]
	s_lshl_b64 s[8:9], s[4:5], 1
	s_delay_alu instid0(VALU_DEP_2) | instskip(SKIP_1) | instid1(VALU_DEP_3)
	v_mad_u32_u24 v1, v5, 34, v6
	v_mul_u32_u24_e32 v5, 34, v5
	v_cmp_gt_u64_e32 vcc_lo, s[2:3], v[8:9]
	ds_load_u16 v1, v1 offset:2
	ds_load_u16 v5, v5
	s_wait_kmcnt 0x0
	s_add_nc_u64 s[6:7], s[6:7], s[8:9]
	s_wait_dscnt 0x1
	v_ashrrev_i16 v7, 8, v1
	v_bfe_i32 v1, v1, 0, 8
	s_wait_dscnt 0x0
	v_mul_u32_u24_e32 v5, 0x10001, v5
	s_delay_alu instid0(VALU_DEP_3) | instskip(NEXT) | instid1(VALU_DEP_3)
	v_cvt_f16_i16_e32 v7, v7
	v_cvt_f16_i16_e32 v1, v1
	s_delay_alu instid0(VALU_DEP_1) | instskip(NEXT) | instid1(VALU_DEP_1)
	v_pack_b32_f16 v1, v1, v7
	v_pk_mul_f16 v1, v1, v5
	global_store_b32 v0, v1, s[6:7] scale_offset
	s_wait_xcnt 0x0
	s_and_b32 exec_lo, exec_lo, vcc_lo
	s_cbranch_execz .LBB1_51
; %bb.20:
	v_add_nc_u32_e32 v0, 64, v2
	s_or_b32 s0, s4, 0x80
	s_delay_alu instid0(SALU_CYCLE_1) | instskip(NEXT) | instid1(VALU_DEP_2)
	v_add_nc_u64_e32 v[8:9], s[0:1], v[2:3]
	v_lshrrev_b32_e32 v0, 5, v0
	s_delay_alu instid0(VALU_DEP_2) | instskip(NEXT) | instid1(VALU_DEP_2)
	v_cmp_gt_u64_e32 vcc_lo, s[2:3], v[8:9]
	v_mad_u32_u24 v1, v0, 34, v6
	v_mul_u32_u24_e32 v0, 34, v0
	ds_load_u16 v1, v1 offset:2
	ds_load_u16 v0, v0
	s_wait_dscnt 0x1
	v_ashrrev_i16 v5, 8, v1
	v_bfe_i32 v1, v1, 0, 8
	s_wait_dscnt 0x0
	v_mul_u32_u24_e32 v10, 0x10001, v0
	s_delay_alu instid0(VALU_DEP_3) | instskip(NEXT) | instid1(VALU_DEP_3)
	v_cvt_f16_i16_e32 v7, v5
	v_cvt_f16_i16_e32 v1, v1
	v_mov_b32_e32 v5, 0
	s_delay_alu instid0(VALU_DEP_2) | instskip(NEXT) | instid1(VALU_DEP_2)
	v_pack_b32_f16 v7, v1, v7
	v_add_nc_u64_e32 v[0:1], s[6:7], v[4:5]
	s_delay_alu instid0(VALU_DEP_2)
	v_pk_mul_f16 v4, v7, v10
	global_store_b32 v[0:1], v4, off offset:128
	s_wait_xcnt 0x0
	s_and_b32 exec_lo, exec_lo, vcc_lo
	s_cbranch_execz .LBB1_51
; %bb.21:
	v_add_nc_u32_e32 v4, 0x80, v2
	s_or_b32 s0, s4, 0xc0
	s_delay_alu instid0(VALU_DEP_1) | instskip(NEXT) | instid1(VALU_DEP_1)
	v_lshrrev_b32_e32 v4, 5, v4
	v_mad_u32_u24 v5, v4, 34, v6
	v_mul_u32_u24_e32 v4, 34, v4
	ds_load_u16 v5, v5 offset:2
	ds_load_u16 v7, v4
	s_wait_dscnt 0x1
	v_ashrrev_i16 v4, 8, v5
	v_bfe_i32 v5, v5, 0, 8
	s_wait_dscnt 0x0
	v_mul_u32_u24_e32 v7, 0x10001, v7
	s_delay_alu instid0(VALU_DEP_3) | instskip(NEXT) | instid1(VALU_DEP_3)
	v_cvt_f16_i16_e32 v8, v4
	v_cvt_f16_i16_e32 v9, v5
	v_add_nc_u64_e32 v[4:5], s[0:1], v[2:3]
	s_delay_alu instid0(VALU_DEP_2) | instskip(NEXT) | instid1(VALU_DEP_2)
	v_pack_b32_f16 v8, v9, v8
	v_cmp_gt_u64_e32 vcc_lo, s[2:3], v[4:5]
	s_delay_alu instid0(VALU_DEP_2)
	v_pk_mul_f16 v4, v8, v7
	global_store_b32 v[0:1], v4, off offset:256
	s_wait_xcnt 0x0
	s_and_b32 exec_lo, exec_lo, vcc_lo
	s_cbranch_execz .LBB1_51
; %bb.22:
	v_add_nc_u32_e32 v4, 0xc0, v2
	s_or_b32 s0, s4, 0x100
	s_delay_alu instid0(VALU_DEP_1) | instskip(NEXT) | instid1(VALU_DEP_1)
	v_lshrrev_b32_e32 v4, 5, v4
	v_mad_u32_u24 v5, v4, 34, v6
	v_mul_u32_u24_e32 v4, 34, v4
	ds_load_u16 v5, v5 offset:2
	ds_load_u16 v7, v4
	s_wait_dscnt 0x1
	v_ashrrev_i16 v4, 8, v5
	v_bfe_i32 v5, v5, 0, 8
	s_wait_dscnt 0x0
	v_mul_u32_u24_e32 v7, 0x10001, v7
	s_delay_alu instid0(VALU_DEP_3) | instskip(NEXT) | instid1(VALU_DEP_3)
	v_cvt_f16_i16_e32 v8, v4
	v_cvt_f16_i16_e32 v9, v5
	v_add_nc_u64_e32 v[4:5], s[0:1], v[2:3]
	s_delay_alu instid0(VALU_DEP_2) | instskip(NEXT) | instid1(VALU_DEP_2)
	v_pack_b32_f16 v8, v9, v8
	v_cmp_gt_u64_e32 vcc_lo, s[2:3], v[4:5]
	;; [unrolled: 27-line block ×29, first 2 shown]
	s_delay_alu instid0(VALU_DEP_2)
	v_pk_mul_f16 v3, v3, v7
	global_store_b32 v[0:1], v3, off offset:3840
	s_wait_xcnt 0x0
	s_and_b32 exec_lo, exec_lo, vcc_lo
	s_cbranch_execz .LBB1_51
; %bb.50:
	v_add_nc_u32_e32 v2, 0x7c0, v2
	s_delay_alu instid0(VALU_DEP_1) | instskip(NEXT) | instid1(VALU_DEP_1)
	v_lshrrev_b32_e32 v2, 5, v2
	v_mad_u32_u24 v3, v2, 34, v6
	v_mul_u32_u24_e32 v2, 34, v2
	ds_load_u16 v3, v3 offset:2
	ds_load_u16 v2, v2
	s_wait_dscnt 0x1
	v_ashrrev_i16 v4, 8, v3
	v_bfe_i32 v3, v3, 0, 8
	s_wait_dscnt 0x0
	v_mul_u32_u24_e32 v2, 0x10001, v2
	s_delay_alu instid0(VALU_DEP_3) | instskip(NEXT) | instid1(VALU_DEP_3)
	v_cvt_f16_i16_e32 v4, v4
	v_cvt_f16_i16_e32 v3, v3
	s_delay_alu instid0(VALU_DEP_1) | instskip(NEXT) | instid1(VALU_DEP_1)
	v_pack_b32_f16 v3, v3, v4
	v_pk_mul_f16 v2, v3, v2
	global_store_b32 v[0:1], v2, off offset:3968
.LBB1_51:
	s_endpgm
	.section	.rodata,"a",@progbits
	.p2align	6, 0x0
	.amdhsa_kernel _ZL25dequantize_block_q8_0_f16ILb1EEvPKvP6__halfl
		.amdhsa_group_segment_fixed_size 2176
		.amdhsa_private_segment_fixed_size 0
		.amdhsa_kernarg_size 24
		.amdhsa_user_sgpr_count 2
		.amdhsa_user_sgpr_dispatch_ptr 0
		.amdhsa_user_sgpr_queue_ptr 0
		.amdhsa_user_sgpr_kernarg_segment_ptr 1
		.amdhsa_user_sgpr_dispatch_id 0
		.amdhsa_user_sgpr_kernarg_preload_length 0
		.amdhsa_user_sgpr_kernarg_preload_offset 0
		.amdhsa_user_sgpr_private_segment_size 0
		.amdhsa_wavefront_size32 1
		.amdhsa_uses_dynamic_stack 0
		.amdhsa_enable_private_segment 0
		.amdhsa_system_sgpr_workgroup_id_x 1
		.amdhsa_system_sgpr_workgroup_id_y 0
		.amdhsa_system_sgpr_workgroup_id_z 0
		.amdhsa_system_sgpr_workgroup_info 0
		.amdhsa_system_vgpr_workitem_id 0
		.amdhsa_next_free_vgpr 12
		.amdhsa_next_free_sgpr 16
		.amdhsa_named_barrier_count 0
		.amdhsa_reserve_vcc 1
		.amdhsa_float_round_mode_32 0
		.amdhsa_float_round_mode_16_64 0
		.amdhsa_float_denorm_mode_32 3
		.amdhsa_float_denorm_mode_16_64 3
		.amdhsa_fp16_overflow 0
		.amdhsa_memory_ordered 1
		.amdhsa_forward_progress 1
		.amdhsa_inst_pref_size 47
		.amdhsa_round_robin_scheduling 0
		.amdhsa_exception_fp_ieee_invalid_op 0
		.amdhsa_exception_fp_denorm_src 0
		.amdhsa_exception_fp_ieee_div_zero 0
		.amdhsa_exception_fp_ieee_overflow 0
		.amdhsa_exception_fp_ieee_underflow 0
		.amdhsa_exception_fp_ieee_inexact 0
		.amdhsa_exception_int_div_zero 0
	.end_amdhsa_kernel
	.section	.text._ZL25dequantize_block_q8_0_f16ILb1EEvPKvP6__halfl,"axG",@progbits,_ZL25dequantize_block_q8_0_f16ILb1EEvPKvP6__halfl,comdat
.Lfunc_end1:
	.size	_ZL25dequantize_block_q8_0_f16ILb1EEvPKvP6__halfl, .Lfunc_end1-_ZL25dequantize_block_q8_0_f16ILb1EEvPKvP6__halfl
                                        ; -- End function
	.set _ZL25dequantize_block_q8_0_f16ILb1EEvPKvP6__halfl.num_vgpr, 12
	.set _ZL25dequantize_block_q8_0_f16ILb1EEvPKvP6__halfl.num_agpr, 0
	.set _ZL25dequantize_block_q8_0_f16ILb1EEvPKvP6__halfl.numbered_sgpr, 16
	.set _ZL25dequantize_block_q8_0_f16ILb1EEvPKvP6__halfl.num_named_barrier, 0
	.set _ZL25dequantize_block_q8_0_f16ILb1EEvPKvP6__halfl.private_seg_size, 0
	.set _ZL25dequantize_block_q8_0_f16ILb1EEvPKvP6__halfl.uses_vcc, 1
	.set _ZL25dequantize_block_q8_0_f16ILb1EEvPKvP6__halfl.uses_flat_scratch, 0
	.set _ZL25dequantize_block_q8_0_f16ILb1EEvPKvP6__halfl.has_dyn_sized_stack, 0
	.set _ZL25dequantize_block_q8_0_f16ILb1EEvPKvP6__halfl.has_recursion, 0
	.set _ZL25dequantize_block_q8_0_f16ILb1EEvPKvP6__halfl.has_indirect_call, 0
	.section	.AMDGPU.csdata,"",@progbits
; Kernel info:
; codeLenInByte = 6016
; TotalNumSgprs: 18
; NumVgprs: 12
; ScratchSize: 0
; MemoryBound: 0
; FloatMode: 240
; IeeeMode: 1
; LDSByteSize: 2176 bytes/workgroup (compile time only)
; SGPRBlocks: 0
; VGPRBlocks: 0
; NumSGPRsForWavesPerEU: 18
; NumVGPRsForWavesPerEU: 12
; NamedBarCnt: 0
; Occupancy: 16
; WaveLimiterHint : 0
; COMPUTE_PGM_RSRC2:SCRATCH_EN: 0
; COMPUTE_PGM_RSRC2:USER_SGPR: 2
; COMPUTE_PGM_RSRC2:TRAP_HANDLER: 0
; COMPUTE_PGM_RSRC2:TGID_X_EN: 1
; COMPUTE_PGM_RSRC2:TGID_Y_EN: 0
; COMPUTE_PGM_RSRC2:TGID_Z_EN: 0
; COMPUTE_PGM_RSRC2:TIDIG_COMP_CNT: 0
	.section	.text._ZL21dequantize_block_q4_0I6__halfEvPKvPT_i,"axG",@progbits,_ZL21dequantize_block_q4_0I6__halfEvPKvPT_i,comdat
	.globl	_ZL21dequantize_block_q4_0I6__halfEvPKvPT_i ; -- Begin function _ZL21dequantize_block_q4_0I6__halfEvPKvPT_i
	.p2align	8
	.type	_ZL21dequantize_block_q4_0I6__halfEvPKvPT_i,@function
_ZL21dequantize_block_q4_0I6__halfEvPKvPT_i: ; @_ZL21dequantize_block_q4_0I6__halfEvPKvPT_i
; %bb.0:
	s_load_b32 s4, s[0:1], 0x10
	s_bfe_u32 s2, ttmp6, 0x4000c
	s_and_b32 s5, ttmp6, 15
	s_add_co_i32 s2, s2, 1
	s_getreg_b32 s6, hwreg(HW_REG_IB_STS2, 6, 4)
	s_mul_i32 s2, ttmp9, s2
	s_mov_b32 s3, 0
	s_add_co_i32 s2, s5, s2
	v_mov_b32_e32 v3, 0
	s_wait_kmcnt 0x0
	s_ashr_i32 s5, s4, 31
	s_cmp_eq_u32 s6, 0
	s_cselect_b32 s2, ttmp9, s2
	s_delay_alu instid0(SALU_CYCLE_1) | instskip(NEXT) | instid1(SALU_CYCLE_1)
	s_lshl_b64 s[6:7], s[2:3], 3
	v_dual_mov_b32 v5, s7 :: v_dual_bitop2_b32 v2, 7, v0 bitop3:0x40
	s_delay_alu instid0(VALU_DEP_1) | instskip(NEXT) | instid1(VALU_DEP_1)
	v_or_b32_e32 v4, s6, v2
	v_cmp_gt_i64_e32 vcc_lo, s[4:5], v[4:5]
	s_and_saveexec_b32 s4, vcc_lo
	s_cbranch_execz .LBB2_2
; %bb.1:
	s_load_b128 s[4:7], s[0:1], 0x0
	v_lshlrev_b32_e32 v2, 6, v2
	s_wait_xcnt 0x0
	s_lshl_b64 s[0:1], s[2:3], 9
	s_wait_kmcnt 0x0
	v_mad_nc_u64_u32 v[6:7], v4, 18, s[4:5]
	v_lshrrev_b32_e32 v4, 1, v0
	s_add_nc_u64 s[0:1], s[6:7], s[0:1]
	s_delay_alu instid0(SALU_CYCLE_1) | instskip(NEXT) | instid1(VALU_DEP_2)
	v_add_nc_u64_e32 v[0:1], s[0:1], v[2:3]
	v_and_b32_e32 v2, 0x1fc, v4
	s_delay_alu instid0(VALU_DEP_4) | instskip(NEXT) | instid1(VALU_DEP_1)
	v_mad_u32_u24 v7, v5, 18, v7
	v_add_nc_u64_e32 v[4:5], v[6:7], v[2:3]
	s_clause 0x1
	global_load_u16 v8, v[6:7], off
	global_load_b32 v9, v[4:5], off offset:2
	v_lshlrev_b32_e32 v2, 1, v2
	s_wait_loadcnt 0x1
	s_wait_xcnt 0x0
	v_cvt_f32_f16_e32 v4, v8
	s_wait_loadcnt 0x0
	v_and_b32_e32 v6, 15, v9
	v_lshrrev_b16 v7, 4, v9
	v_bfe_u32 v12, v9, 16, 4
	v_bfe_u32 v13, v9, 20, 4
	v_dual_mul_f32 v10, 0xc1000000, v4 :: v_dual_lshrrev_b32 v5, 24, v9
	v_lshrrev_b32_e32 v4, 8, v9
	v_cvt_f32_ubyte0_e32 v6, v6
	v_and_b32_e32 v7, 15, v7
	v_bfe_u32 v11, v9, 8, 4
	v_bfe_u32 v9, v9, 24, 4
	v_lshrrev_b16 v14, 4, v4
	v_cvt_f32_ubyte0_e32 v12, v12
	v_cvt_f32_ubyte0_e32 v13, v13
	v_lshrrev_b16 v15, 4, v5
	v_fma_mixlo_f16 v4, v8, v6, v10 op_sel_hi:[1,0,0]
	v_cvt_f32_ubyte0_e32 v6, v7
	v_and_b32_e32 v14, 15, v14
	v_cvt_f32_ubyte0_e32 v11, v11
	v_cvt_f32_ubyte0_e32 v9, v9
	v_fma_mixlo_f16 v5, v8, v12, v10 op_sel_hi:[1,0,0]
	v_fma_mixlo_f16 v7, v8, v13, v10 op_sel_hi:[1,0,0]
	v_cvt_f32_ubyte0_e32 v12, v15
	v_fma_mixlo_f16 v6, v8, v6, v10 op_sel_hi:[1,0,0]
	v_cvt_f32_ubyte0_e32 v13, v14
	v_add_nc_u64_e32 v[0:1], v[0:1], v[2:3]
	v_fma_mixhi_f16 v5, v8, v9, v10 op_sel_hi:[1,0,0]
	v_fma_mixhi_f16 v4, v8, v11, v10 op_sel_hi:[1,0,0]
	;; [unrolled: 1-line block ×4, first 2 shown]
	s_clause 0x1
	global_store_b64 v[0:1], v[4:5], off
	global_store_b64 v[0:1], v[6:7], off offset:32
.LBB2_2:
	s_endpgm
	.section	.rodata,"a",@progbits
	.p2align	6, 0x0
	.amdhsa_kernel _ZL21dequantize_block_q4_0I6__halfEvPKvPT_i
		.amdhsa_group_segment_fixed_size 0
		.amdhsa_private_segment_fixed_size 0
		.amdhsa_kernarg_size 20
		.amdhsa_user_sgpr_count 2
		.amdhsa_user_sgpr_dispatch_ptr 0
		.amdhsa_user_sgpr_queue_ptr 0
		.amdhsa_user_sgpr_kernarg_segment_ptr 1
		.amdhsa_user_sgpr_dispatch_id 0
		.amdhsa_user_sgpr_kernarg_preload_length 0
		.amdhsa_user_sgpr_kernarg_preload_offset 0
		.amdhsa_user_sgpr_private_segment_size 0
		.amdhsa_wavefront_size32 1
		.amdhsa_uses_dynamic_stack 0
		.amdhsa_enable_private_segment 0
		.amdhsa_system_sgpr_workgroup_id_x 1
		.amdhsa_system_sgpr_workgroup_id_y 0
		.amdhsa_system_sgpr_workgroup_id_z 0
		.amdhsa_system_sgpr_workgroup_info 0
		.amdhsa_system_vgpr_workitem_id 0
		.amdhsa_next_free_vgpr 16
		.amdhsa_next_free_sgpr 8
		.amdhsa_named_barrier_count 0
		.amdhsa_reserve_vcc 1
		.amdhsa_float_round_mode_32 0
		.amdhsa_float_round_mode_16_64 0
		.amdhsa_float_denorm_mode_32 3
		.amdhsa_float_denorm_mode_16_64 3
		.amdhsa_fp16_overflow 0
		.amdhsa_memory_ordered 1
		.amdhsa_forward_progress 1
		.amdhsa_inst_pref_size 4
		.amdhsa_round_robin_scheduling 0
		.amdhsa_exception_fp_ieee_invalid_op 0
		.amdhsa_exception_fp_denorm_src 0
		.amdhsa_exception_fp_ieee_div_zero 0
		.amdhsa_exception_fp_ieee_overflow 0
		.amdhsa_exception_fp_ieee_underflow 0
		.amdhsa_exception_fp_ieee_inexact 0
		.amdhsa_exception_int_div_zero 0
	.end_amdhsa_kernel
	.section	.text._ZL21dequantize_block_q4_0I6__halfEvPKvPT_i,"axG",@progbits,_ZL21dequantize_block_q4_0I6__halfEvPKvPT_i,comdat
.Lfunc_end2:
	.size	_ZL21dequantize_block_q4_0I6__halfEvPKvPT_i, .Lfunc_end2-_ZL21dequantize_block_q4_0I6__halfEvPKvPT_i
                                        ; -- End function
	.set _ZL21dequantize_block_q4_0I6__halfEvPKvPT_i.num_vgpr, 16
	.set _ZL21dequantize_block_q4_0I6__halfEvPKvPT_i.num_agpr, 0
	.set _ZL21dequantize_block_q4_0I6__halfEvPKvPT_i.numbered_sgpr, 8
	.set _ZL21dequantize_block_q4_0I6__halfEvPKvPT_i.num_named_barrier, 0
	.set _ZL21dequantize_block_q4_0I6__halfEvPKvPT_i.private_seg_size, 0
	.set _ZL21dequantize_block_q4_0I6__halfEvPKvPT_i.uses_vcc, 1
	.set _ZL21dequantize_block_q4_0I6__halfEvPKvPT_i.uses_flat_scratch, 0
	.set _ZL21dequantize_block_q4_0I6__halfEvPKvPT_i.has_dyn_sized_stack, 0
	.set _ZL21dequantize_block_q4_0I6__halfEvPKvPT_i.has_recursion, 0
	.set _ZL21dequantize_block_q4_0I6__halfEvPKvPT_i.has_indirect_call, 0
	.section	.AMDGPU.csdata,"",@progbits
; Kernel info:
; codeLenInByte = 436
; TotalNumSgprs: 10
; NumVgprs: 16
; ScratchSize: 0
; MemoryBound: 0
; FloatMode: 240
; IeeeMode: 1
; LDSByteSize: 0 bytes/workgroup (compile time only)
; SGPRBlocks: 0
; VGPRBlocks: 0
; NumSGPRsForWavesPerEU: 10
; NumVGPRsForWavesPerEU: 16
; NamedBarCnt: 0
; Occupancy: 16
; WaveLimiterHint : 0
; COMPUTE_PGM_RSRC2:SCRATCH_EN: 0
; COMPUTE_PGM_RSRC2:USER_SGPR: 2
; COMPUTE_PGM_RSRC2:TRAP_HANDLER: 0
; COMPUTE_PGM_RSRC2:TGID_X_EN: 1
; COMPUTE_PGM_RSRC2:TGID_Y_EN: 0
; COMPUTE_PGM_RSRC2:TGID_Z_EN: 0
; COMPUTE_PGM_RSRC2:TIDIG_COMP_CNT: 0
	.section	.text._ZL21dequantize_block_q4_1I6__halfEvPKvPT_i,"axG",@progbits,_ZL21dequantize_block_q4_1I6__halfEvPKvPT_i,comdat
	.globl	_ZL21dequantize_block_q4_1I6__halfEvPKvPT_i ; -- Begin function _ZL21dequantize_block_q4_1I6__halfEvPKvPT_i
	.p2align	8
	.type	_ZL21dequantize_block_q4_1I6__halfEvPKvPT_i,@function
_ZL21dequantize_block_q4_1I6__halfEvPKvPT_i: ; @_ZL21dequantize_block_q4_1I6__halfEvPKvPT_i
; %bb.0:
	s_load_b32 s4, s[0:1], 0x10
	s_bfe_u32 s2, ttmp6, 0x4000c
	s_and_b32 s5, ttmp6, 15
	s_add_co_i32 s2, s2, 1
	s_getreg_b32 s6, hwreg(HW_REG_IB_STS2, 6, 4)
	s_mul_i32 s2, ttmp9, s2
	s_mov_b32 s3, 0
	s_add_co_i32 s2, s5, s2
	v_mov_b32_e32 v3, 0
	s_wait_kmcnt 0x0
	s_ashr_i32 s5, s4, 31
	s_cmp_eq_u32 s6, 0
	s_cselect_b32 s2, ttmp9, s2
	s_delay_alu instid0(SALU_CYCLE_1) | instskip(NEXT) | instid1(SALU_CYCLE_1)
	s_lshl_b64 s[6:7], s[2:3], 3
	v_dual_mov_b32 v5, s7 :: v_dual_bitop2_b32 v2, 7, v0 bitop3:0x40
	s_delay_alu instid0(VALU_DEP_1) | instskip(NEXT) | instid1(VALU_DEP_1)
	v_or_b32_e32 v4, s6, v2
	v_cmp_gt_i64_e32 vcc_lo, s[4:5], v[4:5]
	s_and_saveexec_b32 s4, vcc_lo
	s_cbranch_execz .LBB3_2
; %bb.1:
	s_load_b128 s[4:7], s[0:1], 0x0
	v_lshlrev_b32_e32 v2, 6, v2
	s_wait_xcnt 0x0
	s_lshl_b64 s[0:1], s[2:3], 9
	s_wait_kmcnt 0x0
	v_mad_nc_u64_u32 v[6:7], v4, 20, s[4:5]
	v_lshrrev_b32_e32 v4, 1, v0
	s_add_nc_u64 s[0:1], s[6:7], s[0:1]
	s_delay_alu instid0(SALU_CYCLE_1) | instskip(NEXT) | instid1(VALU_DEP_2)
	v_add_nc_u64_e32 v[0:1], s[0:1], v[2:3]
	v_and_b32_e32 v2, 0x1fc, v4
	s_delay_alu instid0(VALU_DEP_4) | instskip(NEXT) | instid1(VALU_DEP_1)
	v_mad_u32_u24 v7, v5, 20, v7
	v_add_nc_u64_e32 v[4:5], v[6:7], v[2:3]
	s_clause 0x1
	global_load_b32 v8, v[4:5], off offset:4
	global_load_b32 v9, v[6:7], off
	s_wait_loadcnt 0x1
	s_wait_xcnt 0x1
	v_dual_lshlrev_b32 v2, 1, v2 :: v_dual_lshrrev_b32 v4, 8, v8
	s_wait_xcnt 0x0
	v_dual_lshrrev_b32 v5, 24, v8 :: v_dual_bitop2_b32 v6, 15, v8 bitop3:0x40
	v_lshrrev_b16 v7, 4, v8
	v_bfe_u32 v11, v8, 16, 4
	v_bfe_u32 v12, v8, 20, 4
	v_lshrrev_b16 v13, 4, v4
	v_cvt_f32_ubyte0_e32 v6, v6
	v_and_b32_e32 v7, 15, v7
	v_bfe_u32 v10, v8, 8, 4
	v_bfe_u32 v8, v8, 24, 4
	v_cvt_f32_ubyte0_e32 v11, v11
	v_cvt_f32_ubyte0_e32 v12, v12
	v_lshrrev_b16 v14, 4, v5
	s_wait_loadcnt 0x0
	v_fma_mixlo_f16 v4, v9, v6, v9 op_sel:[0,0,1] op_sel_hi:[1,0,1]
	v_cvt_f32_ubyte0_e32 v6, v7
	v_and_b32_e32 v13, 15, v13
	v_cvt_f32_ubyte0_e32 v10, v10
	v_cvt_f32_ubyte0_e32 v8, v8
	v_fma_mixlo_f16 v5, v9, v11, v9 op_sel:[0,0,1] op_sel_hi:[1,0,1]
	v_fma_mixlo_f16 v7, v9, v12, v9 op_sel:[0,0,1] op_sel_hi:[1,0,1]
	v_cvt_f32_ubyte0_e32 v11, v14
	v_fma_mixlo_f16 v6, v9, v6, v9 op_sel:[0,0,1] op_sel_hi:[1,0,1]
	v_cvt_f32_ubyte0_e32 v12, v13
	v_add_nc_u64_e32 v[0:1], v[0:1], v[2:3]
	v_fma_mixhi_f16 v5, v9, v8, v9 op_sel:[0,0,1] op_sel_hi:[1,0,1]
	v_fma_mixhi_f16 v4, v9, v10, v9 op_sel:[0,0,1] op_sel_hi:[1,0,1]
	;; [unrolled: 1-line block ×4, first 2 shown]
	s_clause 0x1
	global_store_b64 v[0:1], v[4:5], off
	global_store_b64 v[0:1], v[6:7], off offset:32
.LBB3_2:
	s_endpgm
	.section	.rodata,"a",@progbits
	.p2align	6, 0x0
	.amdhsa_kernel _ZL21dequantize_block_q4_1I6__halfEvPKvPT_i
		.amdhsa_group_segment_fixed_size 0
		.amdhsa_private_segment_fixed_size 0
		.amdhsa_kernarg_size 20
		.amdhsa_user_sgpr_count 2
		.amdhsa_user_sgpr_dispatch_ptr 0
		.amdhsa_user_sgpr_queue_ptr 0
		.amdhsa_user_sgpr_kernarg_segment_ptr 1
		.amdhsa_user_sgpr_dispatch_id 0
		.amdhsa_user_sgpr_kernarg_preload_length 0
		.amdhsa_user_sgpr_kernarg_preload_offset 0
		.amdhsa_user_sgpr_private_segment_size 0
		.amdhsa_wavefront_size32 1
		.amdhsa_uses_dynamic_stack 0
		.amdhsa_enable_private_segment 0
		.amdhsa_system_sgpr_workgroup_id_x 1
		.amdhsa_system_sgpr_workgroup_id_y 0
		.amdhsa_system_sgpr_workgroup_id_z 0
		.amdhsa_system_sgpr_workgroup_info 0
		.amdhsa_system_vgpr_workitem_id 0
		.amdhsa_next_free_vgpr 15
		.amdhsa_next_free_sgpr 8
		.amdhsa_named_barrier_count 0
		.amdhsa_reserve_vcc 1
		.amdhsa_float_round_mode_32 0
		.amdhsa_float_round_mode_16_64 0
		.amdhsa_float_denorm_mode_32 3
		.amdhsa_float_denorm_mode_16_64 3
		.amdhsa_fp16_overflow 0
		.amdhsa_memory_ordered 1
		.amdhsa_forward_progress 1
		.amdhsa_inst_pref_size 4
		.amdhsa_round_robin_scheduling 0
		.amdhsa_exception_fp_ieee_invalid_op 0
		.amdhsa_exception_fp_denorm_src 0
		.amdhsa_exception_fp_ieee_div_zero 0
		.amdhsa_exception_fp_ieee_overflow 0
		.amdhsa_exception_fp_ieee_underflow 0
		.amdhsa_exception_fp_ieee_inexact 0
		.amdhsa_exception_int_div_zero 0
	.end_amdhsa_kernel
	.section	.text._ZL21dequantize_block_q4_1I6__halfEvPKvPT_i,"axG",@progbits,_ZL21dequantize_block_q4_1I6__halfEvPKvPT_i,comdat
.Lfunc_end3:
	.size	_ZL21dequantize_block_q4_1I6__halfEvPKvPT_i, .Lfunc_end3-_ZL21dequantize_block_q4_1I6__halfEvPKvPT_i
                                        ; -- End function
	.set _ZL21dequantize_block_q4_1I6__halfEvPKvPT_i.num_vgpr, 15
	.set _ZL21dequantize_block_q4_1I6__halfEvPKvPT_i.num_agpr, 0
	.set _ZL21dequantize_block_q4_1I6__halfEvPKvPT_i.numbered_sgpr, 8
	.set _ZL21dequantize_block_q4_1I6__halfEvPKvPT_i.num_named_barrier, 0
	.set _ZL21dequantize_block_q4_1I6__halfEvPKvPT_i.private_seg_size, 0
	.set _ZL21dequantize_block_q4_1I6__halfEvPKvPT_i.uses_vcc, 1
	.set _ZL21dequantize_block_q4_1I6__halfEvPKvPT_i.uses_flat_scratch, 0
	.set _ZL21dequantize_block_q4_1I6__halfEvPKvPT_i.has_dyn_sized_stack, 0
	.set _ZL21dequantize_block_q4_1I6__halfEvPKvPT_i.has_recursion, 0
	.set _ZL21dequantize_block_q4_1I6__halfEvPKvPT_i.has_indirect_call, 0
	.section	.AMDGPU.csdata,"",@progbits
; Kernel info:
; codeLenInByte = 436
; TotalNumSgprs: 10
; NumVgprs: 15
; ScratchSize: 0
; MemoryBound: 0
; FloatMode: 240
; IeeeMode: 1
; LDSByteSize: 0 bytes/workgroup (compile time only)
; SGPRBlocks: 0
; VGPRBlocks: 0
; NumSGPRsForWavesPerEU: 10
; NumVGPRsForWavesPerEU: 15
; NamedBarCnt: 0
; Occupancy: 16
; WaveLimiterHint : 0
; COMPUTE_PGM_RSRC2:SCRATCH_EN: 0
; COMPUTE_PGM_RSRC2:USER_SGPR: 2
; COMPUTE_PGM_RSRC2:TRAP_HANDLER: 0
; COMPUTE_PGM_RSRC2:TGID_X_EN: 1
; COMPUTE_PGM_RSRC2:TGID_Y_EN: 0
; COMPUTE_PGM_RSRC2:TGID_Z_EN: 0
; COMPUTE_PGM_RSRC2:TIDIG_COMP_CNT: 0
	.section	.text._ZL21dequantize_block_q2_KI6__halfEvPKvPT_,"axG",@progbits,_ZL21dequantize_block_q2_KI6__halfEvPKvPT_,comdat
	.globl	_ZL21dequantize_block_q2_KI6__halfEvPKvPT_ ; -- Begin function _ZL21dequantize_block_q2_KI6__halfEvPKvPT_
	.p2align	8
	.type	_ZL21dequantize_block_q2_KI6__halfEvPKvPT_,@function
_ZL21dequantize_block_q2_KI6__halfEvPKvPT_: ; @_ZL21dequantize_block_q2_KI6__halfEvPKvPT_
; %bb.0:
	s_load_b128 s[0:3], s[0:1], 0x0
	s_bfe_u32 s4, ttmp6, 0x4000c
	s_and_b32 s6, ttmp6, 15
	s_add_co_i32 s4, s4, 1
	s_getreg_b32 s7, hwreg(HW_REG_IB_STS2, 6, 4)
	s_mul_i32 s4, ttmp9, s4
	v_dual_mov_b32 v3, 0 :: v_dual_lshrrev_b32 v8, 5, v0
	s_add_co_i32 s6, s6, s4
	s_cmp_eq_u32 s7, 0
	s_mov_b32 s5, 0
	s_cselect_b32 s4, ttmp9, s6
	v_dual_mov_b32 v7, v3 :: v_dual_lshlrev_b32 v2, 3, v8
	s_mul_u64 s[6:7], s[4:5], 0x54
	v_bfe_u32 v6, v0, 4, 1
	v_mov_b32_e32 v1, v3
	s_wait_kmcnt 0x0
	s_add_nc_u64 s[0:1], s[0:1], s[6:7]
	s_delay_alu instid0(SALU_CYCLE_1) | instskip(SKIP_3) | instid1(VALU_DEP_1)
	v_add_nc_u64_e32 v[4:5], s[0:1], v[2:3]
	global_load_u8 v9, v0, s[0:1] offset:16
	v_and_b32_e32 v2, 31, v0
	s_wait_xcnt 0x0
	v_dual_lshlrev_b32 v0, 8, v8 :: v_dual_lshlrev_b32 v2, 1, v2
	v_add_nc_u64_e32 v[4:5], v[4:5], v[6:7]
	s_clause 0x3
	global_load_u8 v6, v[4:5], off
	global_load_u8 v7, v[4:5], off offset:2
	global_load_u8 v10, v[4:5], off offset:4
	;; [unrolled: 1-line block ×3, first 2 shown]
	s_load_b32 s6, s[0:1], 0x50
	s_wait_xcnt 0x0
	s_lshl_b64 s[0:1], s[4:5], 9
	s_delay_alu instid0(SALU_CYCLE_1) | instskip(NEXT) | instid1(SALU_CYCLE_1)
	s_add_nc_u64 s[0:1], s[2:3], s[0:1]
	v_add_nc_u64_e32 v[0:1], s[0:1], v[0:1]
	s_delay_alu instid0(VALU_DEP_1)
	v_add_nc_u64_e32 v[0:1], v[0:1], v[2:3]
	s_wait_kmcnt 0x0
	s_cvt_f32_f16 s0, s6
	s_cvt_hi_f32_f16 s1, s6
	s_wait_loadcnt 0x4
	v_and_b32_e32 v4, 3, v9
	v_bfe_u32 v5, v9, 2, 2
	v_bfe_u32 v8, v9, 4, 2
	v_lshrrev_b32_e32 v9, 6, v9
	s_delay_alu instid0(VALU_DEP_4) | instskip(NEXT) | instid1(VALU_DEP_4)
	v_cvt_f32_ubyte0_e32 v4, v4
	v_cvt_f32_ubyte0_e32 v5, v5
	s_delay_alu instid0(VALU_DEP_4) | instskip(NEXT) | instid1(VALU_DEP_4)
	v_cvt_f32_ubyte0_e32 v8, v8
	v_cvt_f32_ubyte0_e32 v9, v9
	s_wait_loadcnt 0x3
	v_dual_lshrrev_b32 v6, 4, v6 :: v_dual_bitop2_b32 v12, 15, v6 bitop3:0x40
	s_wait_loadcnt 0x2
	v_dual_lshrrev_b32 v7, 4, v7 :: v_dual_bitop2_b32 v13, 15, v7 bitop3:0x40
	;; [unrolled: 2-line block ×4, first 2 shown]
	v_cvt_f32_ubyte0_e32 v12, v12
	v_cvt_f32_ubyte0_e32 v6, v6
	;; [unrolled: 1-line block ×8, first 2 shown]
	v_dual_mul_f32 v12, s0, v12 :: v_dual_mul_f32 v6, s1, v6
	v_dual_mul_f32 v13, s0, v13 :: v_dual_mul_f32 v7, s1, v7
	s_delay_alu instid0(VALU_DEP_4) | instskip(NEXT) | instid1(VALU_DEP_4)
	v_dual_mul_f32 v14, s0, v14 :: v_dual_mul_f32 v15, s0, v15
	v_dual_mul_f32 v10, s1, v10 :: v_dual_mul_f32 v11, s1, v11
	s_delay_alu instid0(VALU_DEP_4) | instskip(NEXT) | instid1(VALU_DEP_4)
	v_fma_mixlo_f16 v2, v12, v4, -v6
	v_fma_mixlo_f16 v3, v13, v5, -v7
	s_delay_alu instid0(VALU_DEP_3) | instskip(NEXT) | instid1(VALU_DEP_4)
	v_fma_mixlo_f16 v4, v14, v8, -v10
	v_fma_mixlo_f16 v5, v15, v9, -v11
	s_clause 0x3
	global_store_b16 v[0:1], v2, off
	global_store_b16 v[0:1], v3, off offset:64
	global_store_b16 v[0:1], v4, off offset:128
	;; [unrolled: 1-line block ×3, first 2 shown]
	s_endpgm
	.section	.rodata,"a",@progbits
	.p2align	6, 0x0
	.amdhsa_kernel _ZL21dequantize_block_q2_KI6__halfEvPKvPT_
		.amdhsa_group_segment_fixed_size 0
		.amdhsa_private_segment_fixed_size 0
		.amdhsa_kernarg_size 16
		.amdhsa_user_sgpr_count 2
		.amdhsa_user_sgpr_dispatch_ptr 0
		.amdhsa_user_sgpr_queue_ptr 0
		.amdhsa_user_sgpr_kernarg_segment_ptr 1
		.amdhsa_user_sgpr_dispatch_id 0
		.amdhsa_user_sgpr_kernarg_preload_length 0
		.amdhsa_user_sgpr_kernarg_preload_offset 0
		.amdhsa_user_sgpr_private_segment_size 0
		.amdhsa_wavefront_size32 1
		.amdhsa_uses_dynamic_stack 0
		.amdhsa_enable_private_segment 0
		.amdhsa_system_sgpr_workgroup_id_x 1
		.amdhsa_system_sgpr_workgroup_id_y 0
		.amdhsa_system_sgpr_workgroup_id_z 0
		.amdhsa_system_sgpr_workgroup_info 0
		.amdhsa_system_vgpr_workitem_id 0
		.amdhsa_next_free_vgpr 16
		.amdhsa_next_free_sgpr 8
		.amdhsa_named_barrier_count 0
		.amdhsa_reserve_vcc 0
		.amdhsa_float_round_mode_32 0
		.amdhsa_float_round_mode_16_64 0
		.amdhsa_float_denorm_mode_32 3
		.amdhsa_float_denorm_mode_16_64 3
		.amdhsa_fp16_overflow 0
		.amdhsa_memory_ordered 1
		.amdhsa_forward_progress 1
		.amdhsa_inst_pref_size 5
		.amdhsa_round_robin_scheduling 0
		.amdhsa_exception_fp_ieee_invalid_op 0
		.amdhsa_exception_fp_denorm_src 0
		.amdhsa_exception_fp_ieee_div_zero 0
		.amdhsa_exception_fp_ieee_overflow 0
		.amdhsa_exception_fp_ieee_underflow 0
		.amdhsa_exception_fp_ieee_inexact 0
		.amdhsa_exception_int_div_zero 0
	.end_amdhsa_kernel
	.section	.text._ZL21dequantize_block_q2_KI6__halfEvPKvPT_,"axG",@progbits,_ZL21dequantize_block_q2_KI6__halfEvPKvPT_,comdat
.Lfunc_end4:
	.size	_ZL21dequantize_block_q2_KI6__halfEvPKvPT_, .Lfunc_end4-_ZL21dequantize_block_q2_KI6__halfEvPKvPT_
                                        ; -- End function
	.set _ZL21dequantize_block_q2_KI6__halfEvPKvPT_.num_vgpr, 16
	.set _ZL21dequantize_block_q2_KI6__halfEvPKvPT_.num_agpr, 0
	.set _ZL21dequantize_block_q2_KI6__halfEvPKvPT_.numbered_sgpr, 8
	.set _ZL21dequantize_block_q2_KI6__halfEvPKvPT_.num_named_barrier, 0
	.set _ZL21dequantize_block_q2_KI6__halfEvPKvPT_.private_seg_size, 0
	.set _ZL21dequantize_block_q2_KI6__halfEvPKvPT_.uses_vcc, 0
	.set _ZL21dequantize_block_q2_KI6__halfEvPKvPT_.uses_flat_scratch, 0
	.set _ZL21dequantize_block_q2_KI6__halfEvPKvPT_.has_dyn_sized_stack, 0
	.set _ZL21dequantize_block_q2_KI6__halfEvPKvPT_.has_recursion, 0
	.set _ZL21dequantize_block_q2_KI6__halfEvPKvPT_.has_indirect_call, 0
	.section	.AMDGPU.csdata,"",@progbits
; Kernel info:
; codeLenInByte = 524
; TotalNumSgprs: 8
; NumVgprs: 16
; ScratchSize: 0
; MemoryBound: 0
; FloatMode: 240
; IeeeMode: 1
; LDSByteSize: 0 bytes/workgroup (compile time only)
; SGPRBlocks: 0
; VGPRBlocks: 0
; NumSGPRsForWavesPerEU: 8
; NumVGPRsForWavesPerEU: 16
; NamedBarCnt: 0
; Occupancy: 16
; WaveLimiterHint : 0
; COMPUTE_PGM_RSRC2:SCRATCH_EN: 0
; COMPUTE_PGM_RSRC2:USER_SGPR: 2
; COMPUTE_PGM_RSRC2:TRAP_HANDLER: 0
; COMPUTE_PGM_RSRC2:TGID_X_EN: 1
; COMPUTE_PGM_RSRC2:TGID_Y_EN: 0
; COMPUTE_PGM_RSRC2:TGID_Z_EN: 0
; COMPUTE_PGM_RSRC2:TIDIG_COMP_CNT: 0
	.section	.text._ZL21dequantize_block_q3_KI6__halfEvPKvPT_,"axG",@progbits,_ZL21dequantize_block_q3_KI6__halfEvPKvPT_,comdat
	.globl	_ZL21dequantize_block_q3_KI6__halfEvPKvPT_ ; -- Begin function _ZL21dequantize_block_q3_KI6__halfEvPKvPT_
	.p2align	8
	.type	_ZL21dequantize_block_q3_KI6__halfEvPKvPT_,@function
_ZL21dequantize_block_q3_KI6__halfEvPKvPT_: ; @_ZL21dequantize_block_q3_KI6__halfEvPKvPT_
; %bb.0:
	v_dual_mov_b32 v5, 0 :: v_dual_lshrrev_b32 v14, 5, v0
	v_lshrrev_b32_e32 v4, 3, v0
	s_load_b64 s[2:3], s[0:1], 0x0
	s_bfe_u32 s4, ttmp6, 0x4000c
	s_delay_alu instid0(VALU_DEP_2) | instskip(SKIP_3) | instid1(VALU_DEP_2)
	v_dual_mov_b32 v3, v5 :: v_dual_lshlrev_b32 v2, 2, v14
	v_dual_lshrrev_b32 v1, 2, v0 :: v_dual_mov_b32 v9, v5
	s_add_co_i32 s4, s4, 1
	s_and_b32 s5, ttmp6, 15
	v_sub_nc_u64_e32 v[6:7], v[4:5], v[2:3]
	s_delay_alu instid0(VALU_DEP_2) | instskip(SKIP_4) | instid1(VALU_DEP_2)
	v_and_b32_e32 v8, 0xf8, v1
	s_mul_i32 s4, ttmp9, s4
	s_mov_b32 s8, exec_lo
	s_add_co_i32 s4, s5, s4
	s_getreg_b32 s5, hwreg(HW_REG_IB_STS2, 6, 4)
                                        ; implicit-def: $vgpr5
	v_lshlrev_b64_e32 v[2:3], 1, v[6:7]
	s_cmp_eq_u32 s5, 0
	s_mov_b32 s5, 0
	s_cselect_b32 s4, ttmp9, s4
	s_delay_alu instid0(SALU_CYCLE_1) | instskip(NEXT) | instid1(VALU_DEP_1)
	s_mul_u64 s[6:7], s[4:5], 0x6e
	v_add_nc_u64_e32 v[12:13], v[2:3], v[8:9]
	v_bfe_u32 v8, v0, 2, 1
                                        ; implicit-def: $vgpr3
	s_delay_alu instid0(VALU_DEP_1) | instskip(NEXT) | instid1(VALU_DEP_1)
	v_dual_mov_b32 v11, v13 :: v_dual_bitop2_b32 v10, v12, v8 bitop3:0x54
	v_cmpx_lt_i64_e32 3, v[10:11]
	s_xor_b32 s8, exec_lo, s8
	s_cbranch_execz .LBB5_10
; %bb.1:
	s_mov_b32 s9, exec_lo
                                        ; implicit-def: $vgpr5
                                        ; implicit-def: $vgpr3
	v_cmpx_lt_u64_e32 7, v[12:13]
	s_xor_b32 s9, exec_lo, s9
	s_cbranch_execz .LBB5_7
; %bb.2:
	s_wait_kmcnt 0x0
	s_add_nc_u64 s[10:11], s[2:3], s[6:7]
                                        ; implicit-def: $vgpr3
	s_delay_alu instid0(SALU_CYCLE_1)
	v_add_nc_u64_e32 v[10:11], s[10:11], v[10:11]
	s_mov_b32 s10, exec_lo
	global_load_u8 v1, v[10:11], off offset:88
	s_wait_xcnt 0x0
	v_cmpx_lt_u64_e32 11, v[12:13]
	s_xor_b32 s10, exec_lo, s10
	s_cbranch_execz .LBB5_4
; %bb.3:
	global_load_u8 v3, v[10:11], off offset:92
                                        ; implicit-def: $vgpr10_vgpr11
	s_wait_loadcnt 0x0
	v_lshrrev_b16 v3, 2, v3
.LBB5_4:
	s_and_not1_saveexec_b32 s10, s10
	s_cbranch_execz .LBB5_6
; %bb.5:
	global_load_u8 v3, v[10:11], off offset:96
.LBB5_6:
	s_wait_xcnt 0x0
	s_or_b32 exec_lo, exec_lo, s10
	s_wait_loadcnt 0x0
	v_lshrrev_b16 v5, 4, v1
                                        ; implicit-def: $vgpr10_vgpr11
.LBB5_7:
	s_and_not1_saveexec_b32 s9, s9
	s_cbranch_execz .LBB5_9
; %bb.8:
	s_wait_kmcnt 0x0
	s_add_nc_u64 s[10:11], s[2:3], s[6:7]
	s_delay_alu instid0(SALU_CYCLE_1)
	v_add_nc_u64_e32 v[10:11], s[10:11], v[10:11]
	s_clause 0x1
	global_load_u8 v1, v[10:11], off offset:96
	global_load_u8 v3, v[10:11], off offset:100
	s_wait_loadcnt 0x1
	v_and_b32_e32 v5, 15, v1
	s_wait_loadcnt 0x0
	v_lshlrev_b16 v3, 2, v3
.LBB5_9:
	s_or_b32 exec_lo, exec_lo, s9
                                        ; implicit-def: $vgpr10_vgpr11
.LBB5_10:
	s_or_saveexec_b32 s10, s8
	s_load_b64 s[8:9], s[0:1], 0x8
	s_xor_b32 exec_lo, exec_lo, s10
	s_cbranch_execz .LBB5_12
; %bb.11:
	s_wait_kmcnt 0x0
	s_add_nc_u64 s[0:1], s[2:3], s[6:7]
	s_delay_alu instid0(SALU_CYCLE_1)
	v_add_nc_u64_e32 v[10:11], s[0:1], v[10:11]
	s_clause 0x1
	global_load_u8 v1, v[10:11], off offset:96
	global_load_u8 v3, v[10:11], off offset:104
	s_wait_loadcnt 0x1
	v_and_b32_e32 v5, 15, v1
	s_wait_loadcnt 0x0
	v_lshlrev_b16 v3, 4, v3
.LBB5_12:
	s_or_b32 exec_lo, exec_lo, s10
	v_dual_mov_b32 v1, 0 :: v_dual_lshlrev_b32 v0, 2, v0
	v_lshlrev_b32_e32 v10, 5, v14
	s_wait_kmcnt 0x0
	s_add_nc_u64 s[0:1], s[2:3], s[6:7]
	v_bitop3_b16 v3, v3, v5, 48 bitop3:0xec
	v_dual_mov_b32 v11, v1 :: v_dual_bitop2_b32 v0, 12, v0 bitop3:0x40
	s_lshl_b64 s[2:3], s[4:5], 9
	v_lshlrev_b64_e32 v[6:7], 6, v[6:7]
	s_delay_alu instid0(VALU_DEP_3) | instskip(NEXT) | instid1(VALU_DEP_3)
	v_and_b32_e32 v3, 0xff, v3
	v_add_nc_u64_e32 v[10:11], s[0:1], v[10:11]
	v_lshl_or_b32 v0, v8, 4, v0
	s_add_nc_u64 s[2:3], s[8:9], s[2:3]
	s_delay_alu instid0(VALU_DEP_3) | instskip(NEXT) | instid1(VALU_DEP_2)
	v_subrev_nc_u32_e32 v3, 32, v3
	v_add_nc_u64_e32 v[8:9], v[10:11], v[0:1]
	v_lshlrev_b32_e64 v10, v4, 1
	v_lshlrev_b32_e32 v4, 8, v14
	s_delay_alu instid0(VALU_DEP_4)
	v_cvt_f32_i32_e32 v3, v3
	s_clause 0x2
	global_load_u8 v11, v0, s[0:1]
	global_load_u16 v12, v1, s[0:1] offset:108
	global_load_u8 v13, v[8:9], off offset:32
	s_wait_loadcnt 0x2
	v_dual_mov_b32 v5, v1 :: v_dual_bitop2_b32 v11, v10, v11 bitop3:0x40
	s_delay_alu instid0(VALU_DEP_1)
	v_add_nc_u64_e32 v[4:5], s[2:3], v[4:5]
	s_wait_loadcnt 0x1
	v_cvt_f32_f16_e32 v12, v12
	s_wait_loadcnt 0x0
	v_lshrrev_b32_e32 v13, v2, v13
	s_mov_b32 s2, exec_lo
	v_cmp_eq_u32_e32 vcc_lo, 0, v11
	v_mul_f32_e32 v3, v12, v3
	v_add_nc_u64_e32 v[4:5], v[4:5], v[6:7]
	v_dual_mov_b32 v7, v1 :: v_dual_lshlrev_b32 v6, 1, v0
	v_cndmask_b32_e64 v11, 0, -4, vcc_lo
	v_add_nc_u32_e32 v12, 4, v0
	s_delay_alu instid0(VALU_DEP_3) | instskip(NEXT) | instid1(VALU_DEP_3)
	v_add_nc_u64_e32 v[4:5], v[4:5], v[6:7]
	v_and_or_b32 v11, v13, 3, v11
	v_or_b32_e32 v13, 1, v0
	s_delay_alu instid0(VALU_DEP_2) | instskip(NEXT) | instid1(VALU_DEP_1)
	v_cvt_f32_i32_e32 v11, v11
	v_fma_mixlo_f16 v6, v3, v11, 0
	global_store_b16 v[4:5], v6, off
	s_wait_xcnt 0x0
	v_cmpx_gt_u32_e64 v12, v13
	s_cbranch_execz .LBB5_14
; %bb.13:
	v_add_nc_u64_e32 v[6:7], s[0:1], v[0:1]
	s_clause 0x3
	global_load_u16 v1, v[6:7], off offset:2
	global_load_u16 v11, v[8:9], off offset:34
	global_load_u8 v12, v0, s[0:1] offset:1
	global_load_u8 v13, v[8:9], off offset:33
	s_wait_loadcnt 0x3
	s_wait_xcnt 0x1
	v_lshrrev_b16 v0, 8, v1
	v_bitop3_b32 v1, v1, 0xff, v10 bitop3:0x80
	s_wait_loadcnt 0x2
	v_lshrrev_b16 v6, 8, v11
	v_and_b32_e32 v7, 0xff, v11
	v_and_b32_e32 v0, 0xffff, v0
	v_cmp_eq_u32_e32 vcc_lo, 0, v1
	s_delay_alu instid0(VALU_DEP_4) | instskip(NEXT) | instid1(VALU_DEP_4)
	v_and_b32_e32 v6, 0xffff, v6
	v_lshrrev_b32_e32 v7, v2, v7
	s_delay_alu instid0(VALU_DEP_4) | instskip(SKIP_1) | instid1(VALU_DEP_4)
	v_and_b32_e32 v0, v10, v0
	v_cndmask_b32_e64 v1, 0, -4, vcc_lo
	v_lshrrev_b32_e32 v6, v2, v6
	s_delay_alu instid0(VALU_DEP_3) | instskip(NEXT) | instid1(VALU_DEP_3)
	v_cmp_eq_u32_e32 vcc_lo, 0, v0
	v_and_or_b32 v1, v7, 3, v1
	v_cndmask_b32_e64 v0, 0, -4, vcc_lo
	s_delay_alu instid0(VALU_DEP_2)
	v_cvt_f32_i32_e32 v1, v1
	s_wait_loadcnt 0x1
	s_wait_xcnt 0x0
	v_and_b32_e32 v8, v10, v12
	v_and_or_b32 v0, v6, 3, v0
	v_mul_f32_e32 v1, v3, v1
	s_delay_alu instid0(VALU_DEP_3) | instskip(NEXT) | instid1(VALU_DEP_3)
	v_cmp_eq_u32_e32 vcc_lo, 0, v8
	v_cvt_f32_i32_e32 v0, v0
	s_wait_loadcnt 0x0
	v_lshrrev_b32_e32 v2, v2, v13
	v_cndmask_b32_e64 v8, 0, -4, vcc_lo
	s_delay_alu instid0(VALU_DEP_3) | instskip(NEXT) | instid1(VALU_DEP_2)
	v_mul_f32_e32 v0, v3, v0
	v_and_or_b32 v2, v2, 3, v8
	s_delay_alu instid0(VALU_DEP_2) | instskip(NEXT) | instid1(VALU_DEP_2)
	v_cvt_pk_f16_f32 v0, v1, v0
	v_cvt_f32_i32_e32 v2, v2
	s_delay_alu instid0(VALU_DEP_1)
	v_fma_mixlo_f16 v2, v3, v2, 0
	s_clause 0x1
	global_store_b16 v[4:5], v2, off offset:2
	global_store_b32 v[4:5], v0, off offset:4
.LBB5_14:
	s_endpgm
	.section	.rodata,"a",@progbits
	.p2align	6, 0x0
	.amdhsa_kernel _ZL21dequantize_block_q3_KI6__halfEvPKvPT_
		.amdhsa_group_segment_fixed_size 0
		.amdhsa_private_segment_fixed_size 0
		.amdhsa_kernarg_size 16
		.amdhsa_user_sgpr_count 2
		.amdhsa_user_sgpr_dispatch_ptr 0
		.amdhsa_user_sgpr_queue_ptr 0
		.amdhsa_user_sgpr_kernarg_segment_ptr 1
		.amdhsa_user_sgpr_dispatch_id 0
		.amdhsa_user_sgpr_kernarg_preload_length 0
		.amdhsa_user_sgpr_kernarg_preload_offset 0
		.amdhsa_user_sgpr_private_segment_size 0
		.amdhsa_wavefront_size32 1
		.amdhsa_uses_dynamic_stack 0
		.amdhsa_enable_private_segment 0
		.amdhsa_system_sgpr_workgroup_id_x 1
		.amdhsa_system_sgpr_workgroup_id_y 0
		.amdhsa_system_sgpr_workgroup_id_z 0
		.amdhsa_system_sgpr_workgroup_info 0
		.amdhsa_system_vgpr_workitem_id 0
		.amdhsa_next_free_vgpr 15
		.amdhsa_next_free_sgpr 12
		.amdhsa_named_barrier_count 0
		.amdhsa_reserve_vcc 1
		.amdhsa_float_round_mode_32 0
		.amdhsa_float_round_mode_16_64 0
		.amdhsa_float_denorm_mode_32 3
		.amdhsa_float_denorm_mode_16_64 3
		.amdhsa_fp16_overflow 0
		.amdhsa_memory_ordered 1
		.amdhsa_forward_progress 1
		.amdhsa_inst_pref_size 9
		.amdhsa_round_robin_scheduling 0
		.amdhsa_exception_fp_ieee_invalid_op 0
		.amdhsa_exception_fp_denorm_src 0
		.amdhsa_exception_fp_ieee_div_zero 0
		.amdhsa_exception_fp_ieee_overflow 0
		.amdhsa_exception_fp_ieee_underflow 0
		.amdhsa_exception_fp_ieee_inexact 0
		.amdhsa_exception_int_div_zero 0
	.end_amdhsa_kernel
	.section	.text._ZL21dequantize_block_q3_KI6__halfEvPKvPT_,"axG",@progbits,_ZL21dequantize_block_q3_KI6__halfEvPKvPT_,comdat
.Lfunc_end5:
	.size	_ZL21dequantize_block_q3_KI6__halfEvPKvPT_, .Lfunc_end5-_ZL21dequantize_block_q3_KI6__halfEvPKvPT_
                                        ; -- End function
	.set _ZL21dequantize_block_q3_KI6__halfEvPKvPT_.num_vgpr, 15
	.set _ZL21dequantize_block_q3_KI6__halfEvPKvPT_.num_agpr, 0
	.set _ZL21dequantize_block_q3_KI6__halfEvPKvPT_.numbered_sgpr, 12
	.set _ZL21dequantize_block_q3_KI6__halfEvPKvPT_.num_named_barrier, 0
	.set _ZL21dequantize_block_q3_KI6__halfEvPKvPT_.private_seg_size, 0
	.set _ZL21dequantize_block_q3_KI6__halfEvPKvPT_.uses_vcc, 1
	.set _ZL21dequantize_block_q3_KI6__halfEvPKvPT_.uses_flat_scratch, 0
	.set _ZL21dequantize_block_q3_KI6__halfEvPKvPT_.has_dyn_sized_stack, 0
	.set _ZL21dequantize_block_q3_KI6__halfEvPKvPT_.has_recursion, 0
	.set _ZL21dequantize_block_q3_KI6__halfEvPKvPT_.has_indirect_call, 0
	.section	.AMDGPU.csdata,"",@progbits
; Kernel info:
; codeLenInByte = 1052
; TotalNumSgprs: 14
; NumVgprs: 15
; ScratchSize: 0
; MemoryBound: 0
; FloatMode: 240
; IeeeMode: 1
; LDSByteSize: 0 bytes/workgroup (compile time only)
; SGPRBlocks: 0
; VGPRBlocks: 0
; NumSGPRsForWavesPerEU: 14
; NumVGPRsForWavesPerEU: 15
; NamedBarCnt: 0
; Occupancy: 16
; WaveLimiterHint : 0
; COMPUTE_PGM_RSRC2:SCRATCH_EN: 0
; COMPUTE_PGM_RSRC2:USER_SGPR: 2
; COMPUTE_PGM_RSRC2:TRAP_HANDLER: 0
; COMPUTE_PGM_RSRC2:TGID_X_EN: 1
; COMPUTE_PGM_RSRC2:TGID_Y_EN: 0
; COMPUTE_PGM_RSRC2:TGID_Z_EN: 0
; COMPUTE_PGM_RSRC2:TIDIG_COMP_CNT: 0
	.section	.text._ZL21dequantize_block_q4_KI6__halfEvPKvPT_,"axG",@progbits,_ZL21dequantize_block_q4_KI6__halfEvPKvPT_,comdat
	.globl	_ZL21dequantize_block_q4_KI6__halfEvPKvPT_ ; -- Begin function _ZL21dequantize_block_q4_KI6__halfEvPKvPT_
	.p2align	8
	.type	_ZL21dequantize_block_q4_KI6__halfEvPKvPT_,@function
_ZL21dequantize_block_q4_KI6__halfEvPKvPT_: ; @_ZL21dequantize_block_q4_KI6__halfEvPKvPT_
; %bb.0:
	s_load_b64 s[4:5], s[0:1], 0x0
	s_bfe_u32 s2, ttmp6, 0x4000c
	s_and_b32 s3, ttmp6, 15
	s_add_co_i32 s2, s2, 1
	v_dual_lshrrev_b32 v1, 3, v0 :: v_dual_mov_b32 v3, 0
	s_mul_i32 s2, ttmp9, s2
	v_cmp_lt_u32_e32 vcc_lo, 15, v0
	s_add_co_i32 s2, s3, s2
	s_getreg_b32 s3, hwreg(HW_REG_IB_STS2, 6, 4)
	v_lshlrev_b32_e32 v2, 1, v1
	s_cmp_eq_u32 s3, 0
	s_mov_b32 s3, 0
	s_cselect_b32 s2, ttmp9, s2
                                        ; implicit-def: $vgpr5
                                        ; implicit-def: $vgpr4
	s_delay_alu instid0(SALU_CYCLE_1) | instskip(SKIP_2) | instid1(SALU_CYCLE_1)
	s_mul_u64 s[6:7], s[2:3], 0x90
	s_wait_kmcnt 0x0
	s_add_nc_u64 s[4:5], s[4:5], s[6:7]
	v_add_nc_u64_e32 v[2:3], s[4:5], v[2:3]
	s_and_saveexec_b32 s6, vcc_lo
	s_delay_alu instid0(SALU_CYCLE_1)
	s_xor_b32 s6, exec_lo, s6
	s_cbranch_execz .LBB6_2
; %bb.1:
	s_clause 0x2
	global_load_u8 v4, v[2:3], off offset:8
	global_load_u8 v5, v[2:3], off
	global_load_u8 v6, v[2:3], off offset:4
	s_wait_loadcnt 0x2
	v_and_b32_e32 v7, 15, v4
	s_wait_loadcnt 0x1
	v_lshrrev_b16 v5, 2, v5
	v_lshrrev_b16 v8, 4, v4
	s_wait_loadcnt 0x0
	v_lshrrev_b16 v6, 2, v6
	s_delay_alu instid0(VALU_DEP_3) | instskip(NEXT) | instid1(VALU_DEP_2)
	v_bitop3_b16 v4, v5, v7, 48 bitop3:0xec
	v_bitop3_b16 v5, v6, v8, 48 bitop3:0xec
.LBB6_2:
	s_and_not1_saveexec_b32 s6, s6
	s_cbranch_execz .LBB6_4
; %bb.3:
	s_clause 0x1
	global_load_u8 v4, v[2:3], off offset:4
	global_load_u8 v5, v[2:3], off offset:8
	s_wait_loadcnt 0x1
	v_and_b32_e32 v4, 63, v4
	s_wait_loadcnt 0x0
	v_and_b32_e32 v5, 63, v5
.LBB6_4:
	s_or_b32 exec_lo, exec_lo, s6
	s_load_b32 s4, s[4:5], 0x0
                                        ; implicit-def: $vgpr7
                                        ; implicit-def: $vgpr6
	s_wait_xcnt 0x0
	s_and_saveexec_b32 s5, vcc_lo
	s_delay_alu instid0(SALU_CYCLE_1)
	s_xor_b32 s5, exec_lo, s5
	s_cbranch_execz .LBB6_6
; %bb.5:
	s_clause 0x2
	global_load_u8 v6, v[2:3], off offset:9
	global_load_u8 v7, v[2:3], off offset:1
	;; [unrolled: 1-line block ×3, first 2 shown]
	s_wait_loadcnt 0x2
	v_and_b32_e32 v9, 15, v6
	s_wait_loadcnt 0x1
	v_lshrrev_b16 v7, 2, v7
	v_lshrrev_b16 v10, 4, v6
	s_wait_loadcnt 0x0
	v_lshrrev_b16 v8, 2, v8
	s_delay_alu instid0(VALU_DEP_3) | instskip(NEXT) | instid1(VALU_DEP_2)
	v_bitop3_b16 v6, v7, v9, 48 bitop3:0xec
	v_bitop3_b16 v7, v8, v10, 48 bitop3:0xec
.LBB6_6:
	s_or_saveexec_b32 s5, s5
	s_load_b64 s[0:1], s[0:1], 0x8
	s_xor_b32 exec_lo, exec_lo, s5
	s_cbranch_execz .LBB6_8
; %bb.7:
	s_clause 0x1
	global_load_u8 v6, v[2:3], off offset:5
	global_load_u8 v7, v[2:3], off offset:9
	s_wait_loadcnt 0x1
	v_and_b32_e32 v6, 63, v6
	s_wait_loadcnt 0x0
	v_and_b32_e32 v7, 63, v7
.LBB6_8:
	s_or_b32 exec_lo, exec_lo, s5
	v_mad_co_u64_u32 v[2:3], null, v1, 30, v[2:3]
	v_dual_mov_b32 v9, 0 :: v_dual_lshlrev_b32 v0, 2, v0
	s_wait_kmcnt 0x0
	s_cvt_hi_f32_f16 s5, s4
	v_cvt_f32_ubyte0_e32 v4, v4
	s_cvt_f32_f16 s4, s4
	v_dual_lshlrev_b32 v0, 7, v1 :: v_dual_bitop2_b32 v8, 28, v0 bitop3:0x40
	s_lshl_b64 s[2:3], s[2:3], 9
	s_delay_alu instid0(SALU_CYCLE_1) | instskip(NEXT) | instid1(VALU_DEP_1)
	s_add_nc_u64 s[0:1], s[0:1], s[2:3]
	v_add_nc_u64_e32 v[2:3], v[2:3], v[8:9]
	v_lshlrev_b32_e32 v8, 1, v8
	global_load_b32 v2, v[2:3], off offset:16
	s_wait_xcnt 0x0
	v_cvt_f32_ubyte0_e32 v3, v5
	v_cvt_f32_ubyte0_e32 v5, v6
	;; [unrolled: 1-line block ×3, first 2 shown]
	v_dual_mov_b32 v1, v9 :: v_dual_mul_f32 v10, s4, v4
	s_delay_alu instid0(VALU_DEP_3) | instskip(NEXT) | instid1(VALU_DEP_3)
	v_dual_mul_f32 v7, s5, v3 :: v_dual_mul_f32 v11, s4, v5
	v_mul_f32_e32 v6, s5, v6
	s_delay_alu instid0(VALU_DEP_3) | instskip(NEXT) | instid1(VALU_DEP_1)
	v_add_nc_u64_e32 v[0:1], s[0:1], v[0:1]
	v_add_nc_u64_e32 v[0:1], v[0:1], v[8:9]
	s_wait_loadcnt 0x0
	v_dual_lshrrev_b32 v3, 8, v2 :: v_dual_lshrrev_b32 v4, 24, v2
	v_lshrrev_b16 v12, 4, v2
	v_and_b32_e32 v5, 15, v2
	v_bfe_u32 v14, v2, 16, 4
	v_bfe_u32 v15, v2, 20, 4
	v_lshrrev_b16 v3, 4, v3
	v_and_b32_e32 v12, 15, v12
	v_bfe_u32 v13, v2, 8, 4
	v_bfe_u32 v2, v2, 24, 4
	v_cvt_f32_ubyte0_e32 v5, v5
	v_cvt_f32_ubyte0_e32 v14, v14
	;; [unrolled: 1-line block ×3, first 2 shown]
	v_lshrrev_b16 v4, 4, v4
	v_cvt_f32_ubyte0_e32 v12, v12
	v_and_b32_e32 v17, 15, v3
	v_cvt_f32_ubyte0_e32 v13, v13
	v_cvt_f32_ubyte0_e32 v16, v2
	v_fma_mixlo_f16 v2, v10, v5, -v7
	v_fma_mixlo_f16 v3, v10, v14, -v7
	;; [unrolled: 1-line block ×3, first 2 shown]
	v_cvt_f32_ubyte0_e32 v14, v4
	v_fma_mixlo_f16 v4, v11, v12, -v6
	v_cvt_f32_ubyte0_e32 v12, v17
	v_fma_mixhi_f16 v3, v10, v16, -v7
	v_fma_mixhi_f16 v2, v10, v13, -v7
	;; [unrolled: 1-line block ×3, first 2 shown]
	s_delay_alu instid0(VALU_DEP_4)
	v_fma_mixhi_f16 v4, v11, v12, -v6
	s_clause 0x1
	global_store_b64 v[0:1], v[2:3], off
	global_store_b64 v[0:1], v[4:5], off offset:64
	s_endpgm
	.section	.rodata,"a",@progbits
	.p2align	6, 0x0
	.amdhsa_kernel _ZL21dequantize_block_q4_KI6__halfEvPKvPT_
		.amdhsa_group_segment_fixed_size 0
		.amdhsa_private_segment_fixed_size 0
		.amdhsa_kernarg_size 16
		.amdhsa_user_sgpr_count 2
		.amdhsa_user_sgpr_dispatch_ptr 0
		.amdhsa_user_sgpr_queue_ptr 0
		.amdhsa_user_sgpr_kernarg_segment_ptr 1
		.amdhsa_user_sgpr_dispatch_id 0
		.amdhsa_user_sgpr_kernarg_preload_length 0
		.amdhsa_user_sgpr_kernarg_preload_offset 0
		.amdhsa_user_sgpr_private_segment_size 0
		.amdhsa_wavefront_size32 1
		.amdhsa_uses_dynamic_stack 0
		.amdhsa_enable_private_segment 0
		.amdhsa_system_sgpr_workgroup_id_x 1
		.amdhsa_system_sgpr_workgroup_id_y 0
		.amdhsa_system_sgpr_workgroup_id_z 0
		.amdhsa_system_sgpr_workgroup_info 0
		.amdhsa_system_vgpr_workitem_id 0
		.amdhsa_next_free_vgpr 18
		.amdhsa_next_free_sgpr 8
		.amdhsa_named_barrier_count 0
		.amdhsa_reserve_vcc 1
		.amdhsa_float_round_mode_32 0
		.amdhsa_float_round_mode_16_64 0
		.amdhsa_float_denorm_mode_32 3
		.amdhsa_float_denorm_mode_16_64 3
		.amdhsa_fp16_overflow 0
		.amdhsa_memory_ordered 1
		.amdhsa_forward_progress 1
		.amdhsa_inst_pref_size 7
		.amdhsa_round_robin_scheduling 0
		.amdhsa_exception_fp_ieee_invalid_op 0
		.amdhsa_exception_fp_denorm_src 0
		.amdhsa_exception_fp_ieee_div_zero 0
		.amdhsa_exception_fp_ieee_overflow 0
		.amdhsa_exception_fp_ieee_underflow 0
		.amdhsa_exception_fp_ieee_inexact 0
		.amdhsa_exception_int_div_zero 0
	.end_amdhsa_kernel
	.section	.text._ZL21dequantize_block_q4_KI6__halfEvPKvPT_,"axG",@progbits,_ZL21dequantize_block_q4_KI6__halfEvPKvPT_,comdat
.Lfunc_end6:
	.size	_ZL21dequantize_block_q4_KI6__halfEvPKvPT_, .Lfunc_end6-_ZL21dequantize_block_q4_KI6__halfEvPKvPT_
                                        ; -- End function
	.set _ZL21dequantize_block_q4_KI6__halfEvPKvPT_.num_vgpr, 18
	.set _ZL21dequantize_block_q4_KI6__halfEvPKvPT_.num_agpr, 0
	.set _ZL21dequantize_block_q4_KI6__halfEvPKvPT_.numbered_sgpr, 8
	.set _ZL21dequantize_block_q4_KI6__halfEvPKvPT_.num_named_barrier, 0
	.set _ZL21dequantize_block_q4_KI6__halfEvPKvPT_.private_seg_size, 0
	.set _ZL21dequantize_block_q4_KI6__halfEvPKvPT_.uses_vcc, 1
	.set _ZL21dequantize_block_q4_KI6__halfEvPKvPT_.uses_flat_scratch, 0
	.set _ZL21dequantize_block_q4_KI6__halfEvPKvPT_.has_dyn_sized_stack, 0
	.set _ZL21dequantize_block_q4_KI6__halfEvPKvPT_.has_recursion, 0
	.set _ZL21dequantize_block_q4_KI6__halfEvPKvPT_.has_indirect_call, 0
	.section	.AMDGPU.csdata,"",@progbits
; Kernel info:
; codeLenInByte = 808
; TotalNumSgprs: 10
; NumVgprs: 18
; ScratchSize: 0
; MemoryBound: 0
; FloatMode: 240
; IeeeMode: 1
; LDSByteSize: 0 bytes/workgroup (compile time only)
; SGPRBlocks: 0
; VGPRBlocks: 1
; NumSGPRsForWavesPerEU: 10
; NumVGPRsForWavesPerEU: 18
; NamedBarCnt: 0
; Occupancy: 16
; WaveLimiterHint : 0
; COMPUTE_PGM_RSRC2:SCRATCH_EN: 0
; COMPUTE_PGM_RSRC2:USER_SGPR: 2
; COMPUTE_PGM_RSRC2:TRAP_HANDLER: 0
; COMPUTE_PGM_RSRC2:TGID_X_EN: 1
; COMPUTE_PGM_RSRC2:TGID_Y_EN: 0
; COMPUTE_PGM_RSRC2:TGID_Z_EN: 0
; COMPUTE_PGM_RSRC2:TIDIG_COMP_CNT: 0
	.section	.text._ZL21dequantize_block_q5_KI6__halfEvPKvPT_,"axG",@progbits,_ZL21dequantize_block_q5_KI6__halfEvPKvPT_,comdat
	.globl	_ZL21dequantize_block_q5_KI6__halfEvPKvPT_ ; -- Begin function _ZL21dequantize_block_q5_KI6__halfEvPKvPT_
	.p2align	8
	.type	_ZL21dequantize_block_q5_KI6__halfEvPKvPT_,@function
_ZL21dequantize_block_q5_KI6__halfEvPKvPT_: ; @_ZL21dequantize_block_q5_KI6__halfEvPKvPT_
; %bb.0:
	s_load_b64 s[4:5], s[0:1], 0x0
	s_bfe_u32 s2, ttmp6, 0x4000c
	s_and_b32 s3, ttmp6, 15
	s_add_co_i32 s2, s2, 1
	v_dual_lshrrev_b32 v1, 4, v0 :: v_dual_mov_b32 v3, 0
	s_mul_i32 s2, ttmp9, s2
	v_cmp_lt_u32_e32 vcc_lo, 31, v0
	s_add_co_i32 s2, s3, s2
	s_getreg_b32 s3, hwreg(HW_REG_IB_STS2, 6, 4)
	v_lshlrev_b32_e32 v2, 1, v1
	s_cmp_eq_u32 s3, 0
	s_mov_b32 s3, 0
	s_cselect_b32 s2, ttmp9, s2
                                        ; implicit-def: $vgpr6
	s_delay_alu instid0(SALU_CYCLE_1) | instskip(SKIP_2) | instid1(SALU_CYCLE_1)
	s_mul_u64 s[6:7], s[2:3], 0xb0
	s_wait_kmcnt 0x0
	s_add_nc_u64 s[4:5], s[4:5], s[6:7]
	v_add_nc_u64_e32 v[4:5], s[4:5], v[2:3]
                                        ; implicit-def: $vgpr3
	s_and_saveexec_b32 s6, vcc_lo
	s_delay_alu instid0(SALU_CYCLE_1)
	s_xor_b32 s6, exec_lo, s6
	s_cbranch_execz .LBB7_2
; %bb.1:
	s_clause 0x2
	global_load_u8 v3, v[4:5], off offset:8
	global_load_u8 v6, v[4:5], off
	global_load_u8 v7, v[4:5], off offset:4
	s_wait_loadcnt 0x2
	v_and_b32_e32 v8, 15, v3
	s_wait_loadcnt 0x1
	v_lshrrev_b16 v6, 2, v6
	v_lshrrev_b16 v9, 4, v3
	s_wait_loadcnt 0x0
	v_lshrrev_b16 v7, 2, v7
	s_delay_alu instid0(VALU_DEP_3) | instskip(NEXT) | instid1(VALU_DEP_2)
	v_bitop3_b16 v3, v6, v8, 48 bitop3:0xec
	v_bitop3_b16 v6, v7, v9, 48 bitop3:0xec
.LBB7_2:
	s_and_not1_saveexec_b32 s6, s6
	s_cbranch_execz .LBB7_4
; %bb.3:
	s_clause 0x1
	global_load_u8 v3, v[4:5], off offset:4
	global_load_u8 v6, v[4:5], off offset:8
	s_wait_loadcnt 0x1
	v_and_b32_e32 v3, 63, v3
	s_wait_loadcnt 0x0
	v_and_b32_e32 v6, 63, v6
.LBB7_4:
	s_or_b32 exec_lo, exec_lo, s6
	s_load_b32 s6, s[4:5], 0x0
                                        ; implicit-def: $vgpr8
                                        ; implicit-def: $vgpr7
	s_and_saveexec_b32 s7, vcc_lo
	s_delay_alu instid0(SALU_CYCLE_1)
	s_xor_b32 s7, exec_lo, s7
	s_cbranch_execz .LBB7_6
; %bb.5:
	s_clause 0x2
	global_load_u8 v7, v[4:5], off offset:9
	global_load_u8 v8, v[4:5], off offset:1
	;; [unrolled: 1-line block ×3, first 2 shown]
	s_wait_loadcnt 0x2
	v_and_b32_e32 v10, 15, v7
	s_wait_loadcnt 0x1
	v_lshrrev_b16 v8, 2, v8
	v_lshrrev_b16 v11, 4, v7
	s_wait_loadcnt 0x0
	v_lshrrev_b16 v9, 2, v9
	s_delay_alu instid0(VALU_DEP_3) | instskip(NEXT) | instid1(VALU_DEP_2)
	v_bitop3_b16 v7, v8, v10, 48 bitop3:0xec
	v_bitop3_b16 v8, v9, v11, 48 bitop3:0xec
.LBB7_6:
	s_or_saveexec_b32 s7, s7
	s_load_b64 s[0:1], s[0:1], 0x8
	s_xor_b32 exec_lo, exec_lo, s7
	s_cbranch_execz .LBB7_8
; %bb.7:
	s_clause 0x1
	global_load_u8 v7, v[4:5], off offset:5
	global_load_u8 v8, v[4:5], off offset:9
	s_wait_loadcnt 0x1
	v_and_b32_e32 v7, 63, v7
	s_wait_loadcnt 0x0
	v_and_b32_e32 v8, 63, v8
.LBB7_8:
	s_or_b32 exec_lo, exec_lo, s7
	v_mad_co_u64_u32 v[4:5], null, v1, 30, v[4:5]
	v_dual_mov_b32 v11, 0 :: v_dual_lshlrev_b32 v0, 1, v0
	v_lshlrev_b32_e64 v13, v2, 2
	v_cvt_f32_ubyte0_e32 v3, v3
	s_lshl_b64 s[2:3], s[2:3], 9
	s_delay_alu instid0(VALU_DEP_3) | instskip(SKIP_2) | instid1(VALU_DEP_1)
	v_dual_lshlrev_b32 v0, 7, v1 :: v_dual_bitop2_b32 v10, 30, v0 bitop3:0x40
	s_wait_kmcnt 0x0
	s_add_nc_u64 s[0:1], s[0:1], s[2:3]
	v_add_nc_u64_e32 v[4:5], v[4:5], v[10:11]
	s_clause 0x1
	global_load_u16 v9, v[4:5], off offset:48
	global_load_u16 v12, v10, s[4:5] offset:16
	s_wait_xcnt 0x1
	v_cvt_f32_ubyte0_e32 v5, v7
	v_cvt_f32_ubyte0_e32 v7, v8
	v_lshlrev_b32_e64 v8, v2, 1
	v_cvt_f32_ubyte0_e32 v4, v6
	s_wait_xcnt 0x0
	s_cvt_hi_f32_f16 s4, s6
	s_cvt_f32_f16 s5, s6
	v_dual_mov_b32 v1, v11 :: v_dual_lshlrev_b32 v10, 1, v10
	s_delay_alu instid0(SALU_CYCLE_2) | instskip(SKIP_1) | instid1(VALU_DEP_3)
	v_dual_mul_f32 v2, s4, v4 :: v_dual_mul_f32 v4, s5, v3
	v_mul_f32_e32 v6, s5, v5
	v_add_nc_u64_e32 v[0:1], s[0:1], v[0:1]
	s_delay_alu instid0(VALU_DEP_1)
	v_add_nc_u64_e32 v[0:1], v[0:1], v[10:11]
	s_wait_loadcnt 0x1
	v_lshrrev_b16 v3, 8, v9
	s_wait_loadcnt 0x0
	v_lshrrev_b16 v14, 8, v12
	v_and_b32_e32 v12, 0xff, v12
	v_lshrrev_b16 v15, 4, v9
	v_and_b32_e32 v5, 15, v9
	v_and_b32_e32 v3, 15, v3
	v_and_b32_e32 v14, 0xffff, v14
	v_and_b32_e32 v16, v8, v12
	v_and_b32_e32 v12, v13, v12
	v_lshrrev_b16 v9, 12, v9
	v_and_b32_e32 v15, 15, v15
	v_and_b32_e32 v8, v8, v14
	v_cmp_eq_u32_e32 vcc_lo, 0, v16
	v_and_b32_e32 v13, v13, v14
	v_and_b32_e32 v3, 0xffff, v3
	;; [unrolled: 1-line block ×4, first 2 shown]
	v_cndmask_b32_e64 v16, 16, 0, vcc_lo
	v_cmp_eq_u32_e32 vcc_lo, 0, v12
	v_cndmask_b32_e64 v12, 16, 0, vcc_lo
	v_cmp_eq_u32_e32 vcc_lo, 0, v8
	v_mul_f32_e32 v8, s4, v7
	v_and_b32_e32 v5, 0xffff, v5
	s_delay_alu instid0(VALU_DEP_4) | instskip(SKIP_2) | instid1(VALU_DEP_4)
	v_or_b32_e32 v7, v12, v15
	v_cndmask_b32_e64 v14, 16, 0, vcc_lo
	v_cmp_eq_u32_e32 vcc_lo, 0, v13
	v_or_b32_e32 v5, v16, v5
	s_delay_alu instid0(VALU_DEP_3) | instskip(SKIP_1) | instid1(VALU_DEP_3)
	v_or_b32_e32 v3, v14, v3
	v_cndmask_b32_e64 v13, 16, 0, vcc_lo
	v_cvt_f32_ubyte0_e32 v12, v5
	v_cvt_f32_ubyte0_e32 v14, v7
	s_delay_alu instid0(VALU_DEP_3) | instskip(SKIP_1) | instid1(VALU_DEP_2)
	v_or_b32_e32 v9, v13, v9
	v_cvt_f32_ubyte0_e32 v13, v3
	v_cvt_f32_ubyte0_e32 v15, v9
	s_delay_alu instid0(VALU_DEP_2) | instskip(NEXT) | instid1(VALU_DEP_2)
	v_pk_fma_f32 v[2:3], v[4:5], v[12:13], v[2:3] op_sel_hi:[0,1,0] neg_lo:[0,0,1] neg_hi:[0,0,1]
	v_pk_fma_f32 v[4:5], v[6:7], v[14:15], v[8:9] op_sel_hi:[0,1,0] neg_lo:[0,0,1] neg_hi:[0,0,1]
	s_delay_alu instid0(VALU_DEP_2) | instskip(NEXT) | instid1(VALU_DEP_2)
	v_cvt_pk_f16_f32 v2, v2, v3
	v_cvt_pk_f16_f32 v3, v4, v5
	s_clause 0x1
	global_store_b32 v[0:1], v2, off
	global_store_b32 v[0:1], v3, off offset:64
	s_endpgm
	.section	.rodata,"a",@progbits
	.p2align	6, 0x0
	.amdhsa_kernel _ZL21dequantize_block_q5_KI6__halfEvPKvPT_
		.amdhsa_group_segment_fixed_size 0
		.amdhsa_private_segment_fixed_size 0
		.amdhsa_kernarg_size 16
		.amdhsa_user_sgpr_count 2
		.amdhsa_user_sgpr_dispatch_ptr 0
		.amdhsa_user_sgpr_queue_ptr 0
		.amdhsa_user_sgpr_kernarg_segment_ptr 1
		.amdhsa_user_sgpr_dispatch_id 0
		.amdhsa_user_sgpr_kernarg_preload_length 0
		.amdhsa_user_sgpr_kernarg_preload_offset 0
		.amdhsa_user_sgpr_private_segment_size 0
		.amdhsa_wavefront_size32 1
		.amdhsa_uses_dynamic_stack 0
		.amdhsa_enable_private_segment 0
		.amdhsa_system_sgpr_workgroup_id_x 1
		.amdhsa_system_sgpr_workgroup_id_y 0
		.amdhsa_system_sgpr_workgroup_id_z 0
		.amdhsa_system_sgpr_workgroup_info 0
		.amdhsa_system_vgpr_workitem_id 0
		.amdhsa_next_free_vgpr 17
		.amdhsa_next_free_sgpr 8
		.amdhsa_named_barrier_count 0
		.amdhsa_reserve_vcc 1
		.amdhsa_float_round_mode_32 0
		.amdhsa_float_round_mode_16_64 0
		.amdhsa_float_denorm_mode_32 3
		.amdhsa_float_denorm_mode_16_64 3
		.amdhsa_fp16_overflow 0
		.amdhsa_memory_ordered 1
		.amdhsa_forward_progress 1
		.amdhsa_inst_pref_size 8
		.amdhsa_round_robin_scheduling 0
		.amdhsa_exception_fp_ieee_invalid_op 0
		.amdhsa_exception_fp_denorm_src 0
		.amdhsa_exception_fp_ieee_div_zero 0
		.amdhsa_exception_fp_ieee_overflow 0
		.amdhsa_exception_fp_ieee_underflow 0
		.amdhsa_exception_fp_ieee_inexact 0
		.amdhsa_exception_int_div_zero 0
	.end_amdhsa_kernel
	.section	.text._ZL21dequantize_block_q5_KI6__halfEvPKvPT_,"axG",@progbits,_ZL21dequantize_block_q5_KI6__halfEvPKvPT_,comdat
.Lfunc_end7:
	.size	_ZL21dequantize_block_q5_KI6__halfEvPKvPT_, .Lfunc_end7-_ZL21dequantize_block_q5_KI6__halfEvPKvPT_
                                        ; -- End function
	.set _ZL21dequantize_block_q5_KI6__halfEvPKvPT_.num_vgpr, 17
	.set _ZL21dequantize_block_q5_KI6__halfEvPKvPT_.num_agpr, 0
	.set _ZL21dequantize_block_q5_KI6__halfEvPKvPT_.numbered_sgpr, 8
	.set _ZL21dequantize_block_q5_KI6__halfEvPKvPT_.num_named_barrier, 0
	.set _ZL21dequantize_block_q5_KI6__halfEvPKvPT_.private_seg_size, 0
	.set _ZL21dequantize_block_q5_KI6__halfEvPKvPT_.uses_vcc, 1
	.set _ZL21dequantize_block_q5_KI6__halfEvPKvPT_.uses_flat_scratch, 0
	.set _ZL21dequantize_block_q5_KI6__halfEvPKvPT_.has_dyn_sized_stack, 0
	.set _ZL21dequantize_block_q5_KI6__halfEvPKvPT_.has_recursion, 0
	.set _ZL21dequantize_block_q5_KI6__halfEvPKvPT_.has_indirect_call, 0
	.section	.AMDGPU.csdata,"",@progbits
; Kernel info:
; codeLenInByte = 904
; TotalNumSgprs: 10
; NumVgprs: 17
; ScratchSize: 0
; MemoryBound: 0
; FloatMode: 240
; IeeeMode: 1
; LDSByteSize: 0 bytes/workgroup (compile time only)
; SGPRBlocks: 0
; VGPRBlocks: 1
; NumSGPRsForWavesPerEU: 10
; NumVGPRsForWavesPerEU: 17
; NamedBarCnt: 0
; Occupancy: 16
; WaveLimiterHint : 0
; COMPUTE_PGM_RSRC2:SCRATCH_EN: 0
; COMPUTE_PGM_RSRC2:USER_SGPR: 2
; COMPUTE_PGM_RSRC2:TRAP_HANDLER: 0
; COMPUTE_PGM_RSRC2:TGID_X_EN: 1
; COMPUTE_PGM_RSRC2:TGID_Y_EN: 0
; COMPUTE_PGM_RSRC2:TGID_Z_EN: 0
; COMPUTE_PGM_RSRC2:TIDIG_COMP_CNT: 0
	.section	.text._ZL21dequantize_block_q6_KI6__halfEvPKvPT_,"axG",@progbits,_ZL21dequantize_block_q6_KI6__halfEvPKvPT_,comdat
	.globl	_ZL21dequantize_block_q6_KI6__halfEvPKvPT_ ; -- Begin function _ZL21dequantize_block_q6_KI6__halfEvPKvPT_
	.p2align	8
	.type	_ZL21dequantize_block_q6_KI6__halfEvPKvPT_,@function
_ZL21dequantize_block_q6_KI6__halfEvPKvPT_: ; @_ZL21dequantize_block_q6_KI6__halfEvPKvPT_
; %bb.0:
	s_load_b128 s[0:3], s[0:1], 0x0
	s_bfe_u32 s6, ttmp6, 0x4000c
	s_and_b32 s4, ttmp6, 15
	s_add_co_i32 s6, s6, 1
	s_getreg_b32 s7, hwreg(HW_REG_IB_STS2, 6, 4)
	s_mul_i32 s6, ttmp9, s6
	v_dual_mov_b32 v3, 0 :: v_dual_lshrrev_b32 v8, 5, v0
	s_add_co_i32 s4, s4, s6
	s_cmp_eq_u32 s7, 0
	s_mov_b32 s5, 0
	s_cselect_b32 s4, ttmp9, s4
	v_dual_mov_b32 v5, v3 :: v_dual_lshlrev_b32 v4, 6, v8
	s_mul_u64 s[6:7], s[4:5], 0xd2
	v_mul_hi_i32_i24_e32 v7, 0xffffffc8, v8
	v_mul_i32_i24_e32 v6, 0xffffffc8, v8
	v_dual_mov_b32 v1, v3 :: v_dual_bitop2_b32 v2, 31, v0 bitop3:0x40
	s_wait_kmcnt 0x0
	s_add_nc_u64 s[0:1], s[0:1], s[6:7]
	s_delay_alu instid0(SALU_CYCLE_1)
	v_add_nc_u64_e32 v[4:5], s[0:1], v[4:5]
	global_load_u8 v9, v0, s[0:1] offset:128
	s_wait_xcnt 0x0
	v_bfe_u32 v0, v0, 4, 1
	v_add_nc_u64_e32 v[6:7], v[4:5], v[6:7]
	v_add_nc_u64_e32 v[4:5], v[4:5], v[2:3]
	s_delay_alu instid0(VALU_DEP_2)
	v_add_nc_u64_e32 v[0:1], v[6:7], v[0:1]
	s_clause 0x6
	global_load_u8 v6, v[4:5], off
	global_load_u16 v7, v3, s[0:1] offset:208
	global_load_i8 v10, v[0:1], off offset:192
	global_load_i8 v11, v[0:1], off offset:194
	;; [unrolled: 1-line block ×4, first 2 shown]
	global_load_u8 v14, v[4:5], off offset:32
	s_wait_xcnt 0x1
	v_dual_mov_b32 v1, v3 :: v_dual_lshlrev_b32 v0, 8, v8
	s_lshl_b64 s[0:1], s[4:5], 9
	s_delay_alu instid0(SALU_CYCLE_1)
	s_add_nc_u64 s[0:1], s[2:3], s[0:1]
	s_delay_alu instid0(VALU_DEP_1) | instid1(SALU_CYCLE_1)
	v_add_nc_u64_e32 v[0:1], s[0:1], v[0:1]
	s_wait_loadcnt 0x7
	s_wait_xcnt 0x0
	v_lshlrev_b16 v4, 4, v9
	s_delay_alu instid0(VALU_DEP_1) | instskip(NEXT) | instid1(VALU_DEP_1)
	v_dual_lshlrev_b32 v2, 1, v2 :: v_dual_bitop2_b32 v4, 48, v4 bitop3:0x40
	v_add_nc_u64_e32 v[0:1], v[0:1], v[2:3]
	v_lshlrev_b16 v2, 2, v9
	s_wait_loadcnt 0x6
	s_delay_alu instid0(VALU_DEP_3)
	v_bitop3_b16 v3, v6, v4, 15 bitop3:0xec
	s_wait_loadcnt 0x5
	v_cvt_f32_f16_e32 v5, v7
	s_wait_loadcnt 0x4
	v_cvt_f32_i32_e32 v7, v10
	v_and_b32_e32 v2, 48, v2
	v_lshrrev_b16 v4, 4, v6
	v_lshrrev_b16 v6, 2, v9
	s_wait_loadcnt 0x0
	v_lshrrev_b16 v8, 4, v14
	v_mul_f32_e32 v7, v5, v7
	v_bitop3_b16 v2, v14, v2, 15 bitop3:0xec
	v_bitop3_b16 v4, v4, v9, 48 bitop3:0xf8
	v_and_b32_e32 v3, 0xffff, v3
	v_bitop3_b16 v6, v8, v6, 48 bitop3:0xf8
	v_cvt_f32_i32_e32 v9, v11
	v_and_b32_e32 v2, 0xffff, v2
	v_and_b32_e32 v4, 0xffff, v4
	v_subrev_nc_u32_e32 v3, 32, v3
	v_and_b32_e32 v6, 0xffff, v6
	v_mul_f32_e32 v8, v5, v9
	v_subrev_nc_u32_e32 v2, 32, v2
	v_cvt_f32_i32_e32 v9, v12
	v_subrev_nc_u32_e32 v4, 32, v4
	v_cvt_f32_i32_e32 v10, v13
	;; [unrolled: 2-line block ×3, first 2 shown]
	v_cvt_f32_i32_e32 v2, v2
	v_mul_f32_e32 v9, v5, v9
	v_cvt_f32_i32_e32 v4, v4
	v_mul_f32_e32 v5, v5, v10
	v_cvt_f32_i32_e32 v6, v6
	v_fma_mixlo_f16 v3, v7, v3, 0
	v_fma_mixlo_f16 v2, v8, v2, 0
	;; [unrolled: 1-line block ×3, first 2 shown]
	s_delay_alu instid0(VALU_DEP_4)
	v_fma_mixlo_f16 v5, v5, v6, 0
	s_clause 0x3
	global_store_b16 v[0:1], v3, off
	global_store_b16 v[0:1], v2, off offset:64
	global_store_b16 v[0:1], v4, off offset:128
	;; [unrolled: 1-line block ×3, first 2 shown]
	s_endpgm
	.section	.rodata,"a",@progbits
	.p2align	6, 0x0
	.amdhsa_kernel _ZL21dequantize_block_q6_KI6__halfEvPKvPT_
		.amdhsa_group_segment_fixed_size 0
		.amdhsa_private_segment_fixed_size 0
		.amdhsa_kernarg_size 16
		.amdhsa_user_sgpr_count 2
		.amdhsa_user_sgpr_dispatch_ptr 0
		.amdhsa_user_sgpr_queue_ptr 0
		.amdhsa_user_sgpr_kernarg_segment_ptr 1
		.amdhsa_user_sgpr_dispatch_id 0
		.amdhsa_user_sgpr_kernarg_preload_length 0
		.amdhsa_user_sgpr_kernarg_preload_offset 0
		.amdhsa_user_sgpr_private_segment_size 0
		.amdhsa_wavefront_size32 1
		.amdhsa_uses_dynamic_stack 0
		.amdhsa_enable_private_segment 0
		.amdhsa_system_sgpr_workgroup_id_x 1
		.amdhsa_system_sgpr_workgroup_id_y 0
		.amdhsa_system_sgpr_workgroup_id_z 0
		.amdhsa_system_sgpr_workgroup_info 0
		.amdhsa_system_vgpr_workitem_id 0
		.amdhsa_next_free_vgpr 15
		.amdhsa_next_free_sgpr 8
		.amdhsa_named_barrier_count 0
		.amdhsa_reserve_vcc 0
		.amdhsa_float_round_mode_32 0
		.amdhsa_float_round_mode_16_64 0
		.amdhsa_float_denorm_mode_32 3
		.amdhsa_float_denorm_mode_16_64 3
		.amdhsa_fp16_overflow 0
		.amdhsa_memory_ordered 1
		.amdhsa_forward_progress 1
		.amdhsa_inst_pref_size 5
		.amdhsa_round_robin_scheduling 0
		.amdhsa_exception_fp_ieee_invalid_op 0
		.amdhsa_exception_fp_denorm_src 0
		.amdhsa_exception_fp_ieee_div_zero 0
		.amdhsa_exception_fp_ieee_overflow 0
		.amdhsa_exception_fp_ieee_underflow 0
		.amdhsa_exception_fp_ieee_inexact 0
		.amdhsa_exception_int_div_zero 0
	.end_amdhsa_kernel
	.section	.text._ZL21dequantize_block_q6_KI6__halfEvPKvPT_,"axG",@progbits,_ZL21dequantize_block_q6_KI6__halfEvPKvPT_,comdat
.Lfunc_end8:
	.size	_ZL21dequantize_block_q6_KI6__halfEvPKvPT_, .Lfunc_end8-_ZL21dequantize_block_q6_KI6__halfEvPKvPT_
                                        ; -- End function
	.set _ZL21dequantize_block_q6_KI6__halfEvPKvPT_.num_vgpr, 15
	.set _ZL21dequantize_block_q6_KI6__halfEvPKvPT_.num_agpr, 0
	.set _ZL21dequantize_block_q6_KI6__halfEvPKvPT_.numbered_sgpr, 8
	.set _ZL21dequantize_block_q6_KI6__halfEvPKvPT_.num_named_barrier, 0
	.set _ZL21dequantize_block_q6_KI6__halfEvPKvPT_.private_seg_size, 0
	.set _ZL21dequantize_block_q6_KI6__halfEvPKvPT_.uses_vcc, 0
	.set _ZL21dequantize_block_q6_KI6__halfEvPKvPT_.uses_flat_scratch, 0
	.set _ZL21dequantize_block_q6_KI6__halfEvPKvPT_.has_dyn_sized_stack, 0
	.set _ZL21dequantize_block_q6_KI6__halfEvPKvPT_.has_recursion, 0
	.set _ZL21dequantize_block_q6_KI6__halfEvPKvPT_.has_indirect_call, 0
	.section	.AMDGPU.csdata,"",@progbits
; Kernel info:
; codeLenInByte = 592
; TotalNumSgprs: 8
; NumVgprs: 15
; ScratchSize: 0
; MemoryBound: 0
; FloatMode: 240
; IeeeMode: 1
; LDSByteSize: 0 bytes/workgroup (compile time only)
; SGPRBlocks: 0
; VGPRBlocks: 0
; NumSGPRsForWavesPerEU: 8
; NumVGPRsForWavesPerEU: 15
; NamedBarCnt: 0
; Occupancy: 16
; WaveLimiterHint : 0
; COMPUTE_PGM_RSRC2:SCRATCH_EN: 0
; COMPUTE_PGM_RSRC2:USER_SGPR: 2
; COMPUTE_PGM_RSRC2:TRAP_HANDLER: 0
; COMPUTE_PGM_RSRC2:TGID_X_EN: 1
; COMPUTE_PGM_RSRC2:TGID_Y_EN: 0
; COMPUTE_PGM_RSRC2:TGID_Z_EN: 0
; COMPUTE_PGM_RSRC2:TIDIG_COMP_CNT: 0
	.section	.text._ZL24dequantize_block_iq2_xxsI6__halfEvPKvPT_,"axG",@progbits,_ZL24dequantize_block_iq2_xxsI6__halfEvPKvPT_,comdat
	.globl	_ZL24dequantize_block_iq2_xxsI6__halfEvPKvPT_ ; -- Begin function _ZL24dequantize_block_iq2_xxsI6__halfEvPKvPT_
	.p2align	8
	.type	_ZL24dequantize_block_iq2_xxsI6__halfEvPKvPT_,@function
_ZL24dequantize_block_iq2_xxsI6__halfEvPKvPT_: ; @_ZL24dequantize_block_iq2_xxsI6__halfEvPKvPT_
; %bb.0:
	s_load_b128 s[0:3], s[0:1], 0x0
	s_bfe_u32 s6, ttmp6, 0x4000c
	s_and_b32 s4, ttmp6, 15
	s_add_co_i32 s6, s6, 1
	s_getreg_b32 s7, hwreg(HW_REG_IB_STS2, 6, 4)
	s_mul_i32 s6, ttmp9, s6
	v_dual_mov_b32 v3, 0 :: v_dual_bitop2_b32 v8, 7, v0 bitop3:0x40
	s_add_co_i32 s4, s4, s6
	s_cmp_eq_u32 s7, 0
	s_mov_b32 s5, 0
	s_cselect_b32 s4, ttmp9, s4
	v_dual_mov_b32 v5, v3 :: v_dual_lshlrev_b32 v4, 3, v8
	s_mul_u64 s[6:7], s[4:5], 0x42
	s_wait_kmcnt 0x0
	s_add_nc_u64 s[0:1], s[0:1], s[6:7]
	s_delay_alu instid0(VALU_DEP_1) | instid1(SALU_CYCLE_1)
	v_add_nc_u64_e32 v[6:7], s[0:1], v[4:5]
	global_load_b32 v1, v4, s[0:1] offset:6
	v_lshrrev_b32_e32 v2, 3, v0
	s_wait_xcnt 0x0
	s_delay_alu instid0(VALU_DEP_1)
	v_add_nc_u64_e32 v[4:5], v[6:7], v[2:3]
	v_mul_u32_u24_e32 v2, 7, v2
	s_clause 0x1
	global_load_u8 v6, v[4:5], off offset:2
	global_load_u16 v7, v3, s[0:1]
	s_wait_xcnt 0x0
	s_get_pc_i64 s[0:1]
	s_add_nc_u64 s[0:1], s[0:1], _ZL12ksigns_iq2xs@rel64+4
	s_wait_loadcnt 0x2
	v_bfe_u32 v9, v1, v2, 7
	v_lshrrev_b32_e32 v1, 28, v1
	global_load_i8 v10, v9, s[0:1]
	s_wait_xcnt 0x0
	s_get_pc_i64 s[0:1]
	s_add_nc_u64 s[0:1], s[0:1], _ZL11iq2xxs_grid@rel64+4
	v_cvt_f32_ubyte0_e32 v1, v1
	s_wait_loadcnt 0x2
	global_load_b64 v[4:5], v6, s[0:1] scale_offset
	s_wait_loadcnt 0x2
	v_cvt_f32_f16_e32 v2, v7
	s_wait_xcnt 0x0
	v_dual_add_f32 v6, 0.5, v1 :: v_dual_mov_b32 v1, v3
	v_and_b32_e32 v7, 0x3f8, v0
	v_lshlrev_b32_e32 v0, 6, v8
	s_lshl_b64 s[0:1], s[4:5], 9
	s_delay_alu instid0(VALU_DEP_3) | instskip(SKIP_3) | instid1(VALU_DEP_3)
	v_mul_f32_e32 v6, v6, v2
	s_add_nc_u64 s[0:1], s[2:3], s[0:1]
	v_lshlrev_b32_e32 v2, 1, v7
	v_add_nc_u64_e32 v[0:1], s[0:1], v[0:1]
	v_mul_f32_e32 v6, 0x3e800000, v6
	s_wait_loadcnt 0x1
	v_and_b32_e32 v7, 1, v10
	s_delay_alu instid0(VALU_DEP_1)
	v_cmp_eq_u16_e32 vcc_lo, 0, v7
	s_wait_loadcnt 0x0
	v_cvt_f32_ubyte0_e32 v15, v4
	v_and_b32_e32 v8, 2, v10
	v_cvt_f32_ubyte1_e32 v16, v4
	v_and_b32_e32 v11, 4, v10
	v_cvt_f32_ubyte2_e32 v17, v4
	v_cvt_f32_ubyte3_e32 v4, v4
	v_cvt_f32_ubyte0_e32 v18, v5
	v_cvt_f32_ubyte1_e32 v19, v5
	v_cvt_f32_ubyte2_e32 v20, v5
	v_cvt_f32_ubyte3_e32 v5, v5
	v_dual_mul_f32 v15, v6, v15 :: v_dual_bitop2_b32 v12, 8, v10 bitop3:0x40
	v_dual_mul_f32 v17, v6, v17 :: v_dual_bitop2_b32 v13, 16, v10 bitop3:0x40
	;; [unrolled: 1-line block ×3, first 2 shown]
	v_dual_mul_f32 v19, v6, v19 :: v_dual_mul_f32 v16, v6, v16
	v_dual_mul_f32 v18, v6, v18 :: v_dual_mul_f32 v20, v6, v20
	v_dual_mul_f32 v5, v6, v5 :: v_dual_cndmask_b32 v6, -v15, v15, vcc_lo
	v_cmp_eq_u16_e32 vcc_lo, 0, v11
	v_cndmask_b32_e64 v7, -v17, v17, vcc_lo
	v_cmp_eq_u16_e32 vcc_lo, 0, v12
	v_cndmask_b32_e64 v11, -v4, v4, vcc_lo
	;; [unrolled: 2-line block ×3, first 2 shown]
	v_cmp_gt_u32_e32 vcc_lo, 64, v9
	v_cndmask_b32_e64 v9, -v20, v20, vcc_lo
	v_cmp_gt_i16_e32 vcc_lo, 0, v10
	v_cndmask_b32_e64 v10, v5, -v5, vcc_lo
	v_cmp_eq_u16_e32 vcc_lo, 0, v14
	v_add_nc_u64_e32 v[4:5], v[0:1], v[2:3]
	v_cvt_pk_f16_f32 v1, v7, v11
	v_cndmask_b32_e64 v13, -v19, v19, vcc_lo
	v_cmp_eq_u16_e32 vcc_lo, 0, v8
	v_cvt_pk_f16_f32 v3, v9, v10
	s_delay_alu instid0(VALU_DEP_3) | instskip(SKIP_1) | instid1(VALU_DEP_1)
	v_cvt_pk_f16_f32 v2, v12, v13
	v_cndmask_b32_e64 v8, -v16, v16, vcc_lo
	v_cvt_pk_f16_f32 v0, v6, v8
	global_store_b128 v[4:5], v[0:3], off
	s_endpgm
	.section	.rodata,"a",@progbits
	.p2align	6, 0x0
	.amdhsa_kernel _ZL24dequantize_block_iq2_xxsI6__halfEvPKvPT_
		.amdhsa_group_segment_fixed_size 0
		.amdhsa_private_segment_fixed_size 0
		.amdhsa_kernarg_size 16
		.amdhsa_user_sgpr_count 2
		.amdhsa_user_sgpr_dispatch_ptr 0
		.amdhsa_user_sgpr_queue_ptr 0
		.amdhsa_user_sgpr_kernarg_segment_ptr 1
		.amdhsa_user_sgpr_dispatch_id 0
		.amdhsa_user_sgpr_kernarg_preload_length 0
		.amdhsa_user_sgpr_kernarg_preload_offset 0
		.amdhsa_user_sgpr_private_segment_size 0
		.amdhsa_wavefront_size32 1
		.amdhsa_uses_dynamic_stack 0
		.amdhsa_enable_private_segment 0
		.amdhsa_system_sgpr_workgroup_id_x 1
		.amdhsa_system_sgpr_workgroup_id_y 0
		.amdhsa_system_sgpr_workgroup_id_z 0
		.amdhsa_system_sgpr_workgroup_info 0
		.amdhsa_system_vgpr_workitem_id 0
		.amdhsa_next_free_vgpr 21
		.amdhsa_next_free_sgpr 8
		.amdhsa_named_barrier_count 0
		.amdhsa_reserve_vcc 1
		.amdhsa_float_round_mode_32 0
		.amdhsa_float_round_mode_16_64 0
		.amdhsa_float_denorm_mode_32 3
		.amdhsa_float_denorm_mode_16_64 3
		.amdhsa_fp16_overflow 0
		.amdhsa_memory_ordered 1
		.amdhsa_forward_progress 1
		.amdhsa_inst_pref_size 5
		.amdhsa_round_robin_scheduling 0
		.amdhsa_exception_fp_ieee_invalid_op 0
		.amdhsa_exception_fp_denorm_src 0
		.amdhsa_exception_fp_ieee_div_zero 0
		.amdhsa_exception_fp_ieee_overflow 0
		.amdhsa_exception_fp_ieee_underflow 0
		.amdhsa_exception_fp_ieee_inexact 0
		.amdhsa_exception_int_div_zero 0
	.end_amdhsa_kernel
	.section	.text._ZL24dequantize_block_iq2_xxsI6__halfEvPKvPT_,"axG",@progbits,_ZL24dequantize_block_iq2_xxsI6__halfEvPKvPT_,comdat
.Lfunc_end9:
	.size	_ZL24dequantize_block_iq2_xxsI6__halfEvPKvPT_, .Lfunc_end9-_ZL24dequantize_block_iq2_xxsI6__halfEvPKvPT_
                                        ; -- End function
	.set _ZL24dequantize_block_iq2_xxsI6__halfEvPKvPT_.num_vgpr, 21
	.set _ZL24dequantize_block_iq2_xxsI6__halfEvPKvPT_.num_agpr, 0
	.set _ZL24dequantize_block_iq2_xxsI6__halfEvPKvPT_.numbered_sgpr, 8
	.set _ZL24dequantize_block_iq2_xxsI6__halfEvPKvPT_.num_named_barrier, 0
	.set _ZL24dequantize_block_iq2_xxsI6__halfEvPKvPT_.private_seg_size, 0
	.set _ZL24dequantize_block_iq2_xxsI6__halfEvPKvPT_.uses_vcc, 1
	.set _ZL24dequantize_block_iq2_xxsI6__halfEvPKvPT_.uses_flat_scratch, 0
	.set _ZL24dequantize_block_iq2_xxsI6__halfEvPKvPT_.has_dyn_sized_stack, 0
	.set _ZL24dequantize_block_iq2_xxsI6__halfEvPKvPT_.has_recursion, 0
	.set _ZL24dequantize_block_iq2_xxsI6__halfEvPKvPT_.has_indirect_call, 0
	.section	.AMDGPU.csdata,"",@progbits
; Kernel info:
; codeLenInByte = 572
; TotalNumSgprs: 10
; NumVgprs: 21
; ScratchSize: 0
; MemoryBound: 0
; FloatMode: 240
; IeeeMode: 1
; LDSByteSize: 0 bytes/workgroup (compile time only)
; SGPRBlocks: 0
; VGPRBlocks: 1
; NumSGPRsForWavesPerEU: 10
; NumVGPRsForWavesPerEU: 21
; NamedBarCnt: 0
; Occupancy: 16
; WaveLimiterHint : 0
; COMPUTE_PGM_RSRC2:SCRATCH_EN: 0
; COMPUTE_PGM_RSRC2:USER_SGPR: 2
; COMPUTE_PGM_RSRC2:TRAP_HANDLER: 0
; COMPUTE_PGM_RSRC2:TGID_X_EN: 1
; COMPUTE_PGM_RSRC2:TGID_Y_EN: 0
; COMPUTE_PGM_RSRC2:TGID_Z_EN: 0
; COMPUTE_PGM_RSRC2:TIDIG_COMP_CNT: 0
	.section	.text._ZL23dequantize_block_iq2_xsI6__halfEvPKvPT_,"axG",@progbits,_ZL23dequantize_block_iq2_xsI6__halfEvPKvPT_,comdat
	.globl	_ZL23dequantize_block_iq2_xsI6__halfEvPKvPT_ ; -- Begin function _ZL23dequantize_block_iq2_xsI6__halfEvPKvPT_
	.p2align	8
	.type	_ZL23dequantize_block_iq2_xsI6__halfEvPKvPT_,@function
_ZL23dequantize_block_iq2_xsI6__halfEvPKvPT_: ; @_ZL23dequantize_block_iq2_xsI6__halfEvPKvPT_
; %bb.0:
	s_load_b128 s[0:3], s[0:1], 0x0
	s_bfe_u32 s4, ttmp6, 0x4000c
	s_and_b32 s6, ttmp6, 15
	s_add_co_i32 s4, s4, 1
	s_getreg_b32 s7, hwreg(HW_REG_IB_STS2, 6, 4)
	s_mul_i32 s4, ttmp9, s4
	v_dual_mov_b32 v3, 0 :: v_dual_bitop2_b32 v6, 7, v0 bitop3:0x40
	s_add_co_i32 s6, s6, s4
	s_cmp_eq_u32 s7, 0
	s_mov_b32 s5, 0
	s_cselect_b32 s4, ttmp9, s6
	v_dual_lshlrev_b32 v2, 6, v6 :: v_dual_lshrrev_b32 v7, 2, v0
	s_lshl_b64 s[6:7], s[4:5], 9
	v_and_b32_e32 v1, 0x3f8, v0
	s_wait_kmcnt 0x0
	s_add_nc_u64 s[2:3], s[2:3], s[6:7]
	s_delay_alu instid0(SALU_CYCLE_1) | instskip(NEXT) | instid1(VALU_DEP_2)
	v_add_nc_u64_e32 v[4:5], s[2:3], v[2:3]
	v_lshlrev_b32_e32 v2, 1, v1
	s_mul_u64 s[2:3], s[4:5], 0x4a
	s_delay_alu instid0(SALU_CYCLE_1) | instskip(SKIP_2) | instid1(VALU_DEP_2)
	s_add_nc_u64 s[0:1], s[0:1], s[2:3]
	s_get_pc_i64 s[2:3]
	s_add_nc_u64 s[2:3], s[2:3], _ZL12ksigns_iq2xs@rel64+4
	v_add_nc_u64_e32 v[4:5], v[4:5], v[2:3]
	v_lshlrev_b32_e32 v2, 3, v6
	s_delay_alu instid0(VALU_DEP_1) | instskip(SKIP_1) | instid1(VALU_DEP_1)
	v_add_nc_u64_e32 v[0:1], s[0:1], v[2:3]
	v_and_b32_e32 v2, 0xfe, v7
	v_add_nc_u64_e32 v[0:1], v[0:1], v[2:3]
	s_clause 0x2
	global_load_u16 v2, v[0:1], off offset:2
	global_load_u16 v8, v3, s[0:1]
	global_load_u8 v9, v6, s[0:1] offset:66
	s_wait_xcnt 0x0
	s_get_pc_i64 s[0:1]
	s_add_nc_u64 s[0:1], s[0:1], _ZL10iq2xs_grid@rel64+4
	s_wait_loadcnt 0x2
	v_and_b32_e32 v0, 0x1ff, v2
	v_and_b32_e32 v1, 0xffff, v2
	s_delay_alu instid0(VALU_DEP_2) | instskip(NEXT) | instid1(VALU_DEP_2)
	v_and_b32_e32 v3, 0xffff, v0
	v_lshrrev_b32_e32 v6, 9, v1
	global_load_b64 v[0:1], v3, s[0:1] scale_offset
	global_load_i8 v10, v6, s[2:3]
	s_wait_xcnt 0x1
	v_and_b32_e32 v3, 0xfc, v7
	s_wait_loadcnt 0x3
	s_wait_xcnt 0x0
	v_cvt_f32_f16_e32 v6, v8
	s_wait_loadcnt 0x2
	v_bfe_u32 v3, v9, v3, 4
	s_delay_alu instid0(VALU_DEP_1) | instskip(NEXT) | instid1(VALU_DEP_1)
	v_cvt_f32_ubyte0_e32 v3, v3
	v_add_f32_e32 v3, 0.5, v3
	s_wait_loadcnt 0x1
	v_cvt_f32_ubyte1_e32 v8, v0
	s_wait_loadcnt 0x0
	v_and_b32_e32 v7, 1, v10
	v_cvt_f32_ubyte2_e32 v11, v0
	v_cvt_f32_ubyte1_e32 v16, v1
	v_cvt_f32_ubyte0_e32 v14, v1
	v_cvt_f32_ubyte2_e32 v18, v1
	v_cmp_eq_u16_e32 vcc_lo, 0, v7
	v_mul_f32_e32 v3, v3, v6
	v_cvt_f32_ubyte0_e32 v6, v0
	v_cvt_f32_ubyte3_e32 v0, v0
	v_cvt_f32_ubyte3_e32 v1, v1
	s_delay_alu instid0(VALU_DEP_4) | instskip(SKIP_3) | instid1(VALU_DEP_4)
	v_mul_f32_e32 v3, 0x3e800000, v3
	v_and_b32_e32 v12, 4, v10
	v_and_b32_e32 v9, 2, v10
	;; [unrolled: 1-line block ×3, first 2 shown]
	v_dual_mul_f32 v1, v3, v1 :: v_dual_bitop2_b32 v15, 16, v10 bitop3:0x40
	v_dual_mul_f32 v0, v3, v0 :: v_dual_mul_f32 v6, v3, v6
	v_dual_mul_f32 v11, v3, v11 :: v_dual_mul_f32 v16, v3, v16
	;; [unrolled: 1-line block ×3, first 2 shown]
	s_delay_alu instid0(VALU_DEP_3)
	v_cndmask_b32_e64 v6, -v6, v6, vcc_lo
	v_cmp_eq_u16_e32 vcc_lo, 0, v12
	v_and_b32_e32 v17, 32, v10
	v_mul_f32_e32 v18, v3, v18
	v_cndmask_b32_e64 v7, -v11, v11, vcc_lo
	v_cmp_eq_u16_e32 vcc_lo, 0, v13
	v_cndmask_b32_e64 v0, -v0, v0, vcc_lo
	v_cmp_eq_u16_e32 vcc_lo, 0, v15
	v_cndmask_b32_e64 v11, -v14, v14, vcc_lo
	v_cmp_gt_i16_e32 vcc_lo, 0, v2
	v_cndmask_b32_e64 v2, v18, -v18, vcc_lo
	v_cmp_gt_i16_e32 vcc_lo, 0, v10
	v_cndmask_b32_e64 v1, v1, -v1, vcc_lo
	v_cmp_eq_u16_e32 vcc_lo, 0, v17
	s_delay_alu instid0(VALU_DEP_2) | instskip(SKIP_4) | instid1(VALU_DEP_4)
	v_cvt_pk_f16_f32 v3, v2, v1
	v_cndmask_b32_e64 v10, -v16, v16, vcc_lo
	v_cmp_eq_u16_e32 vcc_lo, 0, v9
	v_cvt_pk_f16_f32 v1, v7, v0
	v_cndmask_b32_e64 v8, -v8, v8, vcc_lo
	v_cvt_pk_f16_f32 v2, v11, v10
	s_delay_alu instid0(VALU_DEP_2)
	v_cvt_pk_f16_f32 v0, v6, v8
	global_store_b128 v[4:5], v[0:3], off
	s_endpgm
	.section	.rodata,"a",@progbits
	.p2align	6, 0x0
	.amdhsa_kernel _ZL23dequantize_block_iq2_xsI6__halfEvPKvPT_
		.amdhsa_group_segment_fixed_size 0
		.amdhsa_private_segment_fixed_size 0
		.amdhsa_kernarg_size 16
		.amdhsa_user_sgpr_count 2
		.amdhsa_user_sgpr_dispatch_ptr 0
		.amdhsa_user_sgpr_queue_ptr 0
		.amdhsa_user_sgpr_kernarg_segment_ptr 1
		.amdhsa_user_sgpr_dispatch_id 0
		.amdhsa_user_sgpr_kernarg_preload_length 0
		.amdhsa_user_sgpr_kernarg_preload_offset 0
		.amdhsa_user_sgpr_private_segment_size 0
		.amdhsa_wavefront_size32 1
		.amdhsa_uses_dynamic_stack 0
		.amdhsa_enable_private_segment 0
		.amdhsa_system_sgpr_workgroup_id_x 1
		.amdhsa_system_sgpr_workgroup_id_y 0
		.amdhsa_system_sgpr_workgroup_id_z 0
		.amdhsa_system_sgpr_workgroup_info 0
		.amdhsa_system_vgpr_workitem_id 0
		.amdhsa_next_free_vgpr 19
		.amdhsa_next_free_sgpr 8
		.amdhsa_named_barrier_count 0
		.amdhsa_reserve_vcc 1
		.amdhsa_float_round_mode_32 0
		.amdhsa_float_round_mode_16_64 0
		.amdhsa_float_denorm_mode_32 3
		.amdhsa_float_denorm_mode_16_64 3
		.amdhsa_fp16_overflow 0
		.amdhsa_memory_ordered 1
		.amdhsa_forward_progress 1
		.amdhsa_inst_pref_size 5
		.amdhsa_round_robin_scheduling 0
		.amdhsa_exception_fp_ieee_invalid_op 0
		.amdhsa_exception_fp_denorm_src 0
		.amdhsa_exception_fp_ieee_div_zero 0
		.amdhsa_exception_fp_ieee_overflow 0
		.amdhsa_exception_fp_ieee_underflow 0
		.amdhsa_exception_fp_ieee_inexact 0
		.amdhsa_exception_int_div_zero 0
	.end_amdhsa_kernel
	.section	.text._ZL23dequantize_block_iq2_xsI6__halfEvPKvPT_,"axG",@progbits,_ZL23dequantize_block_iq2_xsI6__halfEvPKvPT_,comdat
.Lfunc_end10:
	.size	_ZL23dequantize_block_iq2_xsI6__halfEvPKvPT_, .Lfunc_end10-_ZL23dequantize_block_iq2_xsI6__halfEvPKvPT_
                                        ; -- End function
	.set _ZL23dequantize_block_iq2_xsI6__halfEvPKvPT_.num_vgpr, 19
	.set _ZL23dequantize_block_iq2_xsI6__halfEvPKvPT_.num_agpr, 0
	.set _ZL23dequantize_block_iq2_xsI6__halfEvPKvPT_.numbered_sgpr, 8
	.set _ZL23dequantize_block_iq2_xsI6__halfEvPKvPT_.num_named_barrier, 0
	.set _ZL23dequantize_block_iq2_xsI6__halfEvPKvPT_.private_seg_size, 0
	.set _ZL23dequantize_block_iq2_xsI6__halfEvPKvPT_.uses_vcc, 1
	.set _ZL23dequantize_block_iq2_xsI6__halfEvPKvPT_.uses_flat_scratch, 0
	.set _ZL23dequantize_block_iq2_xsI6__halfEvPKvPT_.has_dyn_sized_stack, 0
	.set _ZL23dequantize_block_iq2_xsI6__halfEvPKvPT_.has_recursion, 0
	.set _ZL23dequantize_block_iq2_xsI6__halfEvPKvPT_.has_indirect_call, 0
	.section	.AMDGPU.csdata,"",@progbits
; Kernel info:
; codeLenInByte = 612
; TotalNumSgprs: 10
; NumVgprs: 19
; ScratchSize: 0
; MemoryBound: 0
; FloatMode: 240
; IeeeMode: 1
; LDSByteSize: 0 bytes/workgroup (compile time only)
; SGPRBlocks: 0
; VGPRBlocks: 1
; NumSGPRsForWavesPerEU: 10
; NumVGPRsForWavesPerEU: 19
; NamedBarCnt: 0
; Occupancy: 16
; WaveLimiterHint : 0
; COMPUTE_PGM_RSRC2:SCRATCH_EN: 0
; COMPUTE_PGM_RSRC2:USER_SGPR: 2
; COMPUTE_PGM_RSRC2:TRAP_HANDLER: 0
; COMPUTE_PGM_RSRC2:TGID_X_EN: 1
; COMPUTE_PGM_RSRC2:TGID_Y_EN: 0
; COMPUTE_PGM_RSRC2:TGID_Z_EN: 0
; COMPUTE_PGM_RSRC2:TIDIG_COMP_CNT: 0
	.section	.text._ZL22dequantize_block_iq2_sI6__halfEvPKvPT_,"axG",@progbits,_ZL22dequantize_block_iq2_sI6__halfEvPKvPT_,comdat
	.globl	_ZL22dequantize_block_iq2_sI6__halfEvPKvPT_ ; -- Begin function _ZL22dequantize_block_iq2_sI6__halfEvPKvPT_
	.p2align	8
	.type	_ZL22dequantize_block_iq2_sI6__halfEvPKvPT_,@function
_ZL22dequantize_block_iq2_sI6__halfEvPKvPT_: ; @_ZL22dequantize_block_iq2_sI6__halfEvPKvPT_
; %bb.0:
	s_load_b128 s[0:3], s[0:1], 0x0
	s_bfe_u32 s6, ttmp6, 0x4000c
	s_and_b32 s4, ttmp6, 15
	s_add_co_i32 s6, s6, 1
	s_getreg_b32 s7, hwreg(HW_REG_IB_STS2, 6, 4)
	s_mul_i32 s6, ttmp9, s6
	v_dual_mov_b32 v3, 0 :: v_dual_bitop2_b32 v6, 7, v0 bitop3:0x40
	s_add_co_i32 s4, s4, s6
	s_cmp_eq_u32 s7, 0
	s_mov_b32 s5, 0
	s_cselect_b32 s4, ttmp9, s4
	v_dual_mov_b32 v5, v3 :: v_dual_lshlrev_b32 v4, 2, v6
	s_mul_u64 s[6:7], s[4:5], 0x52
	v_lshrrev_b32_e32 v2, 3, v0
	s_wait_kmcnt 0x0
	s_add_nc_u64 s[0:1], s[0:1], s[6:7]
	s_delay_alu instid0(SALU_CYCLE_1) | instskip(NEXT) | instid1(VALU_DEP_1)
	v_add_nc_u64_e32 v[4:5], s[0:1], v[4:5]
	v_add_nc_u64_e32 v[4:5], v[4:5], v[2:3]
	v_lshlrev_b32_e32 v2, 1, v2
	s_clause 0x3
	global_load_u8 v1, v6, s[0:1] offset:66
	global_load_u8 v7, v[4:5], off offset:2
	global_load_i8 v8, v[4:5], off offset:34
	global_load_u8 v9, v6, s[0:1] offset:74
	v_sub_nc_u32_e32 v2, 8, v2
	global_load_u16 v10, v3, s[0:1]
	s_wait_xcnt 0x0
	s_get_pc_i64 s[0:1]
	s_add_nc_u64 s[0:1], s[0:1], _ZL9iq2s_grid@rel64+4
	s_wait_loadcnt 0x4
	v_lshlrev_b32_e32 v1, v2, v1
	s_wait_loadcnt 0x3
	s_delay_alu instid0(VALU_DEP_1)
	v_and_or_b32 v1, 0x300, v1, v7
	v_and_b32_e32 v7, 0x3f8, v0
	global_load_b64 v[4:5], v1, s[0:1] scale_offset
	s_wait_xcnt 0x0
	v_dual_lshrrev_b32 v1, 2, v0 :: v_dual_lshlrev_b32 v0, 6, v6
	s_lshl_b64 s[0:1], s[4:5], 9
	s_delay_alu instid0(SALU_CYCLE_1) | instskip(NEXT) | instid1(VALU_DEP_1)
	s_add_nc_u64 s[0:1], s[2:3], s[0:1]
	v_and_b32_e32 v1, 0xfc, v1
	s_wait_loadcnt 0x2
	s_delay_alu instid0(VALU_DEP_1) | instskip(SKIP_1) | instid1(VALU_DEP_2)
	v_bfe_u32 v2, v9, v1, 4
	v_dual_mov_b32 v1, v3 :: v_dual_bitop2_b32 v9, 1, v8 bitop3:0x40
	v_cvt_f32_ubyte0_e32 v6, v2
	v_lshlrev_b32_e32 v2, 1, v7
	s_wait_loadcnt 0x1
	v_cvt_f32_f16_e32 v7, v10
	v_cmp_eq_u16_e32 vcc_lo, 0, v9
	v_add_nc_u64_e32 v[0:1], s[0:1], v[0:1]
	v_dual_add_f32 v6, 0.5, v6 :: v_dual_bitop2_b32 v10, 2, v8 bitop3:0x40
	s_delay_alu instid0(VALU_DEP_1) | instskip(NEXT) | instid1(VALU_DEP_1)
	v_mul_f32_e32 v6, v6, v7
	v_mul_f32_e32 v6, 0x3e800000, v6
	s_wait_loadcnt 0x0
	v_cvt_f32_ubyte0_e32 v15, v4
	v_and_b32_e32 v11, 4, v8
	v_cvt_f32_ubyte1_e32 v16, v4
	v_cvt_f32_ubyte2_e32 v17, v4
	v_cvt_f32_ubyte3_e32 v4, v4
	v_cvt_f32_ubyte0_e32 v18, v5
	v_cvt_f32_ubyte1_e32 v19, v5
	v_cvt_f32_ubyte2_e32 v20, v5
	v_cvt_f32_ubyte3_e32 v5, v5
	v_dual_mul_f32 v15, v6, v15 :: v_dual_bitop2_b32 v7, 8, v8 bitop3:0x40
	v_dual_mul_f32 v17, v6, v17 :: v_dual_bitop2_b32 v12, 16, v8 bitop3:0x40
	;; [unrolled: 1-line block ×4, first 2 shown]
	v_dual_mul_f32 v5, v6, v5 :: v_dual_mul_f32 v16, v6, v16
	v_mul_f32_e32 v4, v6, v4
	v_dual_mul_f32 v20, v6, v20 :: v_dual_cndmask_b32 v6, -v15, v15, vcc_lo
	v_cmp_eq_u16_e32 vcc_lo, 0, v11
	v_cndmask_b32_e64 v9, -v17, v17, vcc_lo
	v_cmp_eq_u16_e32 vcc_lo, 0, v7
	v_cndmask_b32_e64 v7, -v4, v4, vcc_lo
	;; [unrolled: 2-line block ×4, first 2 shown]
	v_cmp_gt_i16_e32 vcc_lo, 0, v8
	v_cndmask_b32_e64 v8, v5, -v5, vcc_lo
	v_cmp_eq_u16_e32 vcc_lo, 0, v13
	v_add_nc_u64_e32 v[4:5], v[0:1], v[2:3]
	v_cvt_pk_f16_f32 v1, v9, v7
	v_cndmask_b32_e64 v13, -v19, v19, vcc_lo
	v_cmp_eq_u16_e32 vcc_lo, 0, v10
	v_cvt_pk_f16_f32 v3, v12, v8
	s_delay_alu instid0(VALU_DEP_3) | instskip(SKIP_1) | instid1(VALU_DEP_1)
	v_cvt_pk_f16_f32 v2, v11, v13
	v_cndmask_b32_e64 v10, -v16, v16, vcc_lo
	v_cvt_pk_f16_f32 v0, v6, v10
	global_store_b128 v[4:5], v[0:3], off
	s_endpgm
	.section	.rodata,"a",@progbits
	.p2align	6, 0x0
	.amdhsa_kernel _ZL22dequantize_block_iq2_sI6__halfEvPKvPT_
		.amdhsa_group_segment_fixed_size 0
		.amdhsa_private_segment_fixed_size 0
		.amdhsa_kernarg_size 16
		.amdhsa_user_sgpr_count 2
		.amdhsa_user_sgpr_dispatch_ptr 0
		.amdhsa_user_sgpr_queue_ptr 0
		.amdhsa_user_sgpr_kernarg_segment_ptr 1
		.amdhsa_user_sgpr_dispatch_id 0
		.amdhsa_user_sgpr_kernarg_preload_length 0
		.amdhsa_user_sgpr_kernarg_preload_offset 0
		.amdhsa_user_sgpr_private_segment_size 0
		.amdhsa_wavefront_size32 1
		.amdhsa_uses_dynamic_stack 0
		.amdhsa_enable_private_segment 0
		.amdhsa_system_sgpr_workgroup_id_x 1
		.amdhsa_system_sgpr_workgroup_id_y 0
		.amdhsa_system_sgpr_workgroup_id_z 0
		.amdhsa_system_sgpr_workgroup_info 0
		.amdhsa_system_vgpr_workitem_id 0
		.amdhsa_next_free_vgpr 21
		.amdhsa_next_free_sgpr 8
		.amdhsa_named_barrier_count 0
		.amdhsa_reserve_vcc 1
		.amdhsa_float_round_mode_32 0
		.amdhsa_float_round_mode_16_64 0
		.amdhsa_float_denorm_mode_32 3
		.amdhsa_float_denorm_mode_16_64 3
		.amdhsa_fp16_overflow 0
		.amdhsa_memory_ordered 1
		.amdhsa_forward_progress 1
		.amdhsa_inst_pref_size 5
		.amdhsa_round_robin_scheduling 0
		.amdhsa_exception_fp_ieee_invalid_op 0
		.amdhsa_exception_fp_denorm_src 0
		.amdhsa_exception_fp_ieee_div_zero 0
		.amdhsa_exception_fp_ieee_overflow 0
		.amdhsa_exception_fp_ieee_underflow 0
		.amdhsa_exception_fp_ieee_inexact 0
		.amdhsa_exception_int_div_zero 0
	.end_amdhsa_kernel
	.section	.text._ZL22dequantize_block_iq2_sI6__halfEvPKvPT_,"axG",@progbits,_ZL22dequantize_block_iq2_sI6__halfEvPKvPT_,comdat
.Lfunc_end11:
	.size	_ZL22dequantize_block_iq2_sI6__halfEvPKvPT_, .Lfunc_end11-_ZL22dequantize_block_iq2_sI6__halfEvPKvPT_
                                        ; -- End function
	.set _ZL22dequantize_block_iq2_sI6__halfEvPKvPT_.num_vgpr, 21
	.set _ZL22dequantize_block_iq2_sI6__halfEvPKvPT_.num_agpr, 0
	.set _ZL22dequantize_block_iq2_sI6__halfEvPKvPT_.numbered_sgpr, 8
	.set _ZL22dequantize_block_iq2_sI6__halfEvPKvPT_.num_named_barrier, 0
	.set _ZL22dequantize_block_iq2_sI6__halfEvPKvPT_.private_seg_size, 0
	.set _ZL22dequantize_block_iq2_sI6__halfEvPKvPT_.uses_vcc, 1
	.set _ZL22dequantize_block_iq2_sI6__halfEvPKvPT_.uses_flat_scratch, 0
	.set _ZL22dequantize_block_iq2_sI6__halfEvPKvPT_.has_dyn_sized_stack, 0
	.set _ZL22dequantize_block_iq2_sI6__halfEvPKvPT_.has_recursion, 0
	.set _ZL22dequantize_block_iq2_sI6__halfEvPKvPT_.has_indirect_call, 0
	.section	.AMDGPU.csdata,"",@progbits
; Kernel info:
; codeLenInByte = 608
; TotalNumSgprs: 10
; NumVgprs: 21
; ScratchSize: 0
; MemoryBound: 0
; FloatMode: 240
; IeeeMode: 1
; LDSByteSize: 0 bytes/workgroup (compile time only)
; SGPRBlocks: 0
; VGPRBlocks: 1
; NumSGPRsForWavesPerEU: 10
; NumVGPRsForWavesPerEU: 21
; NamedBarCnt: 0
; Occupancy: 16
; WaveLimiterHint : 0
; COMPUTE_PGM_RSRC2:SCRATCH_EN: 0
; COMPUTE_PGM_RSRC2:USER_SGPR: 2
; COMPUTE_PGM_RSRC2:TRAP_HANDLER: 0
; COMPUTE_PGM_RSRC2:TGID_X_EN: 1
; COMPUTE_PGM_RSRC2:TGID_Y_EN: 0
; COMPUTE_PGM_RSRC2:TGID_Z_EN: 0
; COMPUTE_PGM_RSRC2:TIDIG_COMP_CNT: 0
	.section	.text._ZL24dequantize_block_iq3_xxsI6__halfEvPKvPT_,"axG",@progbits,_ZL24dequantize_block_iq3_xxsI6__halfEvPKvPT_,comdat
	.globl	_ZL24dequantize_block_iq3_xxsI6__halfEvPKvPT_ ; -- Begin function _ZL24dequantize_block_iq3_xxsI6__halfEvPKvPT_
	.p2align	8
	.type	_ZL24dequantize_block_iq3_xxsI6__halfEvPKvPT_,@function
_ZL24dequantize_block_iq3_xxsI6__halfEvPKvPT_: ; @_ZL24dequantize_block_iq3_xxsI6__halfEvPKvPT_
; %bb.0:
	s_load_b128 s[0:3], s[0:1], 0x0
	s_bfe_u32 s4, ttmp6, 0x4000c
	s_and_b32 s6, ttmp6, 15
	s_add_co_i32 s4, s4, 1
	s_getreg_b32 s7, hwreg(HW_REG_IB_STS2, 6, 4)
	s_mul_i32 s4, ttmp9, s4
	v_dual_mov_b32 v5, 0 :: v_dual_bitop2_b32 v1, 7, v0 bitop3:0x40
	s_add_co_i32 s6, s6, s4
	s_cmp_eq_u32 s7, 0
	s_mov_b32 s5, 0
	s_cselect_b32 s4, ttmp9, s6
	v_dual_lshlrev_b32 v4, 6, v1 :: v_dual_lshrrev_b32 v10, 3, v0
	s_lshl_b64 s[6:7], s[4:5], 9
	v_and_b32_e32 v6, 0x3f8, v0
	s_wait_kmcnt 0x0
	s_add_nc_u64 s[2:3], s[2:3], s[6:7]
	s_delay_alu instid0(SALU_CYCLE_1) | instskip(NEXT) | instid1(VALU_DEP_2)
	v_add_nc_u64_e32 v[2:3], s[2:3], v[4:5]
	v_lshlrev_b32_e32 v4, 1, v6
	s_mul_u64 s[2:3], s[4:5], 0x62
	s_delay_alu instid0(SALU_CYCLE_1) | instskip(SKIP_2) | instid1(VALU_DEP_2)
	s_add_nc_u64 s[0:1], s[0:1], s[2:3]
	s_get_pc_i64 s[2:3]
	s_add_nc_u64 s[2:3], s[2:3], _ZL12ksigns_iq2xs@rel64+4
	v_add_nc_u64_e32 v[2:3], v[2:3], v[4:5]
	v_lshlrev_b32_e32 v4, 3, v1
	s_delay_alu instid0(VALU_DEP_1) | instskip(SKIP_1) | instid1(VALU_DEP_1)
	v_add_nc_u64_e32 v[6:7], s[0:1], v[4:5]
	v_lshlrev_b32_e32 v4, 2, v1
	v_sub_nc_u64_e32 v[0:1], 0, v[4:5]
	v_lshlrev_b32_e32 v4, 1, v10
	s_delay_alu instid0(VALU_DEP_1) | instskip(NEXT) | instid1(VALU_DEP_3)
	v_add_nc_u64_e32 v[8:9], v[6:7], v[4:5]
	v_add_nc_u64_e32 v[0:1], v[6:7], v[0:1]
	s_clause 0x2
	global_load_u16 v4, v[8:9], off offset:2
	global_load_u16 v6, v5, s[0:1]
	global_load_b32 v7, v[0:1], off offset:66
	s_wait_xcnt 0x0
	v_mul_u32_u24_e32 v0, 7, v10
	s_get_pc_i64 s[0:1]
	s_add_nc_u64 s[0:1], s[0:1], _ZL11iq3xxs_grid@rel64+4
	s_wait_loadcnt 0x2
	v_and_b32_e32 v1, 0xff, v4
	v_lshrrev_b16 v4, 8, v4
	s_wait_loadcnt 0x0
	v_bfe_u32 v0, v7, v0, 7
	v_lshrrev_b32_e32 v7, 28, v7
	v_cvt_f32_f16_e32 v6, v6
	global_load_b32 v1, v1, s[0:1] scale_offset
	v_and_b32_e32 v4, 0xffff, v4
	global_load_i8 v5, v0, s[2:3]
	v_cvt_f32_ubyte0_e32 v7, v7
	global_load_b32 v4, v4, s[0:1] scale_offset
	v_add_f32_e32 v7, 0.5, v7
	s_delay_alu instid0(VALU_DEP_1) | instskip(NEXT) | instid1(VALU_DEP_1)
	v_mul_f32_e32 v6, v7, v6
	v_mul_f32_e32 v6, 0.5, v6
	s_wait_loadcnt 0x2
	v_cvt_f32_ubyte0_e32 v7, v1
	v_cvt_f32_ubyte2_e32 v9, v1
	s_wait_loadcnt 0x1
	v_and_b32_e32 v10, 1, v5
	v_and_b32_e32 v11, 16, v5
	v_dual_mul_f32 v7, v6, v7 :: v_dual_bitop2_b32 v12, 2, v5 bitop3:0x40
	v_cvt_f32_ubyte1_e32 v8, v1
	s_delay_alu instid0(VALU_DEP_4)
	v_cmp_eq_u16_e32 vcc_lo, 0, v10
	v_and_b32_e32 v14, 4, v5
	v_cvt_f32_ubyte3_e32 v1, v1
	s_wait_loadcnt 0x0
	v_cvt_f32_ubyte0_e32 v16, v4
	v_and_b32_e32 v15, 8, v5
	v_cvt_f32_ubyte2_e32 v18, v4
	v_dual_mul_f32 v9, v6, v9 :: v_dual_cndmask_b32 v10, -v7, v7, vcc_lo
	v_cmp_eq_u16_e32 vcc_lo, 0, v14
	v_cvt_f32_ubyte1_e32 v17, v4
	v_cvt_f32_ubyte3_e32 v4, v4
	v_dual_mul_f32 v1, v6, v1 :: v_dual_mul_f32 v7, v6, v16
	v_dual_mul_f32 v14, v6, v18 :: v_dual_cndmask_b32 v9, -v9, v9, vcc_lo
	v_cmp_eq_u16_e32 vcc_lo, 0, v15
	v_dual_mul_f32 v8, v6, v8 :: v_dual_bitop2_b32 v13, 32, v5 bitop3:0x40
	s_delay_alu instid0(VALU_DEP_4) | instskip(SKIP_2) | instid1(VALU_DEP_4)
	v_dual_mul_f32 v4, v6, v4 :: v_dual_cndmask_b32 v1, -v1, v1, vcc_lo
	v_cmp_eq_u16_e32 vcc_lo, 0, v11
	v_dual_mul_f32 v16, v6, v17 :: v_dual_cndmask_b32 v6, -v7, v7, vcc_lo
	v_cmp_eq_u16_e32 vcc_lo, 0, v13
	s_delay_alu instid0(VALU_DEP_2) | instskip(SKIP_1) | instid1(VALU_DEP_2)
	v_cndmask_b32_e64 v11, -v16, v16, vcc_lo
	v_cmp_gt_u32_e32 vcc_lo, 64, v0
	v_cvt_pk_f16_f32 v6, v6, v11
	v_cndmask_b32_e64 v0, -v14, v14, vcc_lo
	v_cmp_gt_i16_e32 vcc_lo, 0, v5
	v_cvt_pk_f16_f32 v5, v9, v1
	v_cndmask_b32_e64 v4, v4, -v4, vcc_lo
	v_cmp_eq_u16_e32 vcc_lo, 0, v12
	s_delay_alu instid0(VALU_DEP_2) | instskip(SKIP_1) | instid1(VALU_DEP_1)
	v_cvt_pk_f16_f32 v7, v0, v4
	v_cndmask_b32_e64 v8, -v8, v8, vcc_lo
	v_cvt_pk_f16_f32 v4, v10, v8
	global_store_b128 v[2:3], v[4:7], off
	s_endpgm
	.section	.rodata,"a",@progbits
	.p2align	6, 0x0
	.amdhsa_kernel _ZL24dequantize_block_iq3_xxsI6__halfEvPKvPT_
		.amdhsa_group_segment_fixed_size 0
		.amdhsa_private_segment_fixed_size 0
		.amdhsa_kernarg_size 16
		.amdhsa_user_sgpr_count 2
		.amdhsa_user_sgpr_dispatch_ptr 0
		.amdhsa_user_sgpr_queue_ptr 0
		.amdhsa_user_sgpr_kernarg_segment_ptr 1
		.amdhsa_user_sgpr_dispatch_id 0
		.amdhsa_user_sgpr_kernarg_preload_length 0
		.amdhsa_user_sgpr_kernarg_preload_offset 0
		.amdhsa_user_sgpr_private_segment_size 0
		.amdhsa_wavefront_size32 1
		.amdhsa_uses_dynamic_stack 0
		.amdhsa_enable_private_segment 0
		.amdhsa_system_sgpr_workgroup_id_x 1
		.amdhsa_system_sgpr_workgroup_id_y 0
		.amdhsa_system_sgpr_workgroup_id_z 0
		.amdhsa_system_sgpr_workgroup_info 0
		.amdhsa_system_vgpr_workitem_id 0
		.amdhsa_next_free_vgpr 19
		.amdhsa_next_free_sgpr 8
		.amdhsa_named_barrier_count 0
		.amdhsa_reserve_vcc 1
		.amdhsa_float_round_mode_32 0
		.amdhsa_float_round_mode_16_64 0
		.amdhsa_float_denorm_mode_32 3
		.amdhsa_float_denorm_mode_16_64 3
		.amdhsa_fp16_overflow 0
		.amdhsa_memory_ordered 1
		.amdhsa_forward_progress 1
		.amdhsa_inst_pref_size 5
		.amdhsa_round_robin_scheduling 0
		.amdhsa_exception_fp_ieee_invalid_op 0
		.amdhsa_exception_fp_denorm_src 0
		.amdhsa_exception_fp_ieee_div_zero 0
		.amdhsa_exception_fp_ieee_overflow 0
		.amdhsa_exception_fp_ieee_underflow 0
		.amdhsa_exception_fp_ieee_inexact 0
		.amdhsa_exception_int_div_zero 0
	.end_amdhsa_kernel
	.section	.text._ZL24dequantize_block_iq3_xxsI6__halfEvPKvPT_,"axG",@progbits,_ZL24dequantize_block_iq3_xxsI6__halfEvPKvPT_,comdat
.Lfunc_end12:
	.size	_ZL24dequantize_block_iq3_xxsI6__halfEvPKvPT_, .Lfunc_end12-_ZL24dequantize_block_iq3_xxsI6__halfEvPKvPT_
                                        ; -- End function
	.set _ZL24dequantize_block_iq3_xxsI6__halfEvPKvPT_.num_vgpr, 19
	.set _ZL24dequantize_block_iq3_xxsI6__halfEvPKvPT_.num_agpr, 0
	.set _ZL24dequantize_block_iq3_xxsI6__halfEvPKvPT_.numbered_sgpr, 8
	.set _ZL24dequantize_block_iq3_xxsI6__halfEvPKvPT_.num_named_barrier, 0
	.set _ZL24dequantize_block_iq3_xxsI6__halfEvPKvPT_.private_seg_size, 0
	.set _ZL24dequantize_block_iq3_xxsI6__halfEvPKvPT_.uses_vcc, 1
	.set _ZL24dequantize_block_iq3_xxsI6__halfEvPKvPT_.uses_flat_scratch, 0
	.set _ZL24dequantize_block_iq3_xxsI6__halfEvPKvPT_.has_dyn_sized_stack, 0
	.set _ZL24dequantize_block_iq3_xxsI6__halfEvPKvPT_.has_recursion, 0
	.set _ZL24dequantize_block_iq3_xxsI6__halfEvPKvPT_.has_indirect_call, 0
	.section	.AMDGPU.csdata,"",@progbits
; Kernel info:
; codeLenInByte = 616
; TotalNumSgprs: 10
; NumVgprs: 19
; ScratchSize: 0
; MemoryBound: 0
; FloatMode: 240
; IeeeMode: 1
; LDSByteSize: 0 bytes/workgroup (compile time only)
; SGPRBlocks: 0
; VGPRBlocks: 1
; NumSGPRsForWavesPerEU: 10
; NumVGPRsForWavesPerEU: 19
; NamedBarCnt: 0
; Occupancy: 16
; WaveLimiterHint : 0
; COMPUTE_PGM_RSRC2:SCRATCH_EN: 0
; COMPUTE_PGM_RSRC2:USER_SGPR: 2
; COMPUTE_PGM_RSRC2:TRAP_HANDLER: 0
; COMPUTE_PGM_RSRC2:TGID_X_EN: 1
; COMPUTE_PGM_RSRC2:TGID_Y_EN: 0
; COMPUTE_PGM_RSRC2:TGID_Z_EN: 0
; COMPUTE_PGM_RSRC2:TIDIG_COMP_CNT: 0
	.section	.text._ZL22dequantize_block_iq1_sI6__halfEvPKvPT_,"axG",@progbits,_ZL22dequantize_block_iq1_sI6__halfEvPKvPT_,comdat
	.globl	_ZL22dequantize_block_iq1_sI6__halfEvPKvPT_ ; -- Begin function _ZL22dequantize_block_iq1_sI6__halfEvPKvPT_
	.p2align	8
	.type	_ZL22dequantize_block_iq1_sI6__halfEvPKvPT_,@function
_ZL22dequantize_block_iq1_sI6__halfEvPKvPT_: ; @_ZL22dequantize_block_iq1_sI6__halfEvPKvPT_
; %bb.0:
	s_load_b128 s[0:3], s[0:1], 0x0
	s_bfe_u32 s6, ttmp6, 0x4000c
	s_and_b32 s4, ttmp6, 15
	s_add_co_i32 s6, s6, 1
	s_getreg_b32 s7, hwreg(HW_REG_IB_STS2, 6, 4)
	s_mul_i32 s6, ttmp9, s6
	v_dual_mov_b32 v3, 0 :: v_dual_bitop2_b32 v8, 7, v0 bitop3:0x40
	s_add_co_i32 s4, s4, s6
	s_cmp_eq_u32 s7, 0
	s_mov_b32 s5, 0
	s_cselect_b32 s4, ttmp9, s4
	v_dual_mov_b32 v5, v3 :: v_dual_lshlrev_b32 v4, 1, v8
	s_mul_u64 s[6:7], s[4:5], 50
	v_lshrrev_b32_e32 v2, 3, v0
	v_and_b32_e32 v10, 0x3f8, v0
	v_lshlrev_b32_e32 v0, 6, v8
	s_wait_kmcnt 0x0
	s_add_nc_u64 s[0:1], s[0:1], s[6:7]
	s_get_pc_i64 s[6:7]
	s_add_nc_u64 s[6:7], s[6:7], _ZL13iq1s_grid_gpu@rel64+4
	v_add_nc_u64_e32 v[6:7], s[0:1], v[4:5]
	global_load_u16 v9, v8, s[0:1] offset:34 scale_offset
	v_add_nc_u64_e32 v[4:5], v[6:7], v[4:5]
	s_delay_alu instid0(VALU_DEP_1)
	v_add_nc_u64_e32 v[4:5], v[4:5], v[2:3]
	v_mul_u32_u24_e32 v2, 3, v2
	global_load_u8 v1, v[4:5], off offset:2
	s_wait_xcnt 0x0
	v_mov_b32_e32 v5, v3
	s_wait_loadcnt 0x1
	v_and_b32_e32 v4, 0xffff, v9
	v_cmp_lt_i16_e32 vcc_lo, -1, v9
	s_delay_alu instid0(VALU_DEP_2) | instskip(SKIP_1) | instid1(VALU_DEP_2)
	v_lshrrev_b32_e32 v2, v2, v4
	v_lshrrev_b16 v4, 11, v9
	v_lshlrev_b32_e32 v2, 8, v2
	s_wait_loadcnt 0x0
	s_delay_alu instid0(VALU_DEP_1)
	v_and_or_b32 v1, 0x700, v2, v1
	global_load_u16 v2, v3, s[0:1]
	global_load_b32 v7, v1, s[6:7] scale_offset
	s_wait_xcnt 0x0
	v_mov_b32_e32 v1, v3
	v_bitop3_b16 v3, v4, 1, 14 bitop3:0xec
	v_mov_b32_e32 v6, 0xbf600000
	s_lshl_b64 s[0:1], s[4:5], 9
	s_delay_alu instid0(SALU_CYCLE_1) | instskip(NEXT) | instid1(VALU_DEP_2)
	s_add_nc_u64 s[0:1], s[2:3], s[0:1]
	v_cvt_f32_ubyte0_e32 v3, v3
	v_add_nc_u64_e32 v[0:1], s[0:1], v[0:1]
	s_wait_loadcnt 0x1
	v_cvt_f32_f16_e32 v8, v2
	v_lshlrev_b32_e32 v4, 1, v10
	s_wait_loadcnt 0x0
	v_bfe_u32 v9, v7, 20, 4
	v_bfe_u32 v10, v7, 12, 4
	v_cndmask_b32_e32 v2, 0xbf900000, v6, vcc_lo
	v_mul_f32_e32 v6, v8, v3
	v_and_b32_e32 v3, 0xf0f0f0f, v7
	v_cvt_f32_ubyte0_e32 v9, v9
	v_cvt_f32_ubyte0_e32 v8, v10
	v_bfe_u32 v11, v7, 8, 4
	v_and_b32_e32 v10, 15, v7
	v_bfe_u32 v12, v7, 16, 4
	v_bfe_u32 v14, v7, 4, 4
	v_lshrrev_b32_e32 v7, 28, v7
	v_pk_add_f32 v[8:9], v[2:3], v[8:9] op_sel_hi:[0,1]
	v_cvt_f32_ubyte0_e32 v11, v11
	v_cvt_f32_ubyte3_e32 v13, v3
	v_cvt_f32_ubyte0_e32 v12, v12
	v_cvt_f32_ubyte0_e32 v10, v10
	v_pk_mul_f32 v[8:9], v[6:7], v[8:9] op_sel_hi:[0,1]
	v_cvt_f32_ubyte0_e32 v3, v14
	v_cvt_f32_ubyte0_e32 v7, v7
	v_add_nc_u64_e32 v[4:5], v[0:1], v[4:5]
	s_delay_alu instid0(VALU_DEP_4) | instskip(NEXT) | instid1(VALU_DEP_4)
	v_cvt_pk_f16_f32 v14, v8, v9
	v_pk_add_f32 v[12:13], v[2:3], v[12:13] op_sel_hi:[0,1]
	v_pk_add_f32 v[10:11], v[2:3], v[10:11] op_sel_hi:[0,1]
	v_add_f32_e32 v15, v2, v3
	s_delay_alu instid0(VALU_DEP_4) | instskip(NEXT) | instid1(VALU_DEP_4)
	v_dual_add_f32 v2, v2, v7 :: v_dual_lshrrev_b32 v3, 16, v14
	v_pk_mul_f32 v[8:9], v[6:7], v[12:13] op_sel_hi:[0,1]
	s_delay_alu instid0(VALU_DEP_4) | instskip(NEXT) | instid1(VALU_DEP_4)
	v_pk_mul_f32 v[10:11], v[6:7], v[10:11] op_sel_hi:[0,1]
	v_fma_mixlo_f16 v7, v6, v15, 0
	s_delay_alu instid0(VALU_DEP_4) | instskip(NEXT) | instid1(VALU_DEP_4)
	v_fma_mixhi_f16 v3, v6, v2, 0
	v_cvt_pk_f16_f32 v1, v8, v9
	s_delay_alu instid0(VALU_DEP_4) | instskip(NEXT) | instid1(VALU_DEP_4)
	v_cvt_pk_f16_f32 v0, v10, v11
	v_pack_b32_f16 v2, v7, v14
	global_store_b128 v[4:5], v[0:3], off
	s_endpgm
	.section	.rodata,"a",@progbits
	.p2align	6, 0x0
	.amdhsa_kernel _ZL22dequantize_block_iq1_sI6__halfEvPKvPT_
		.amdhsa_group_segment_fixed_size 0
		.amdhsa_private_segment_fixed_size 0
		.amdhsa_kernarg_size 16
		.amdhsa_user_sgpr_count 2
		.amdhsa_user_sgpr_dispatch_ptr 0
		.amdhsa_user_sgpr_queue_ptr 0
		.amdhsa_user_sgpr_kernarg_segment_ptr 1
		.amdhsa_user_sgpr_dispatch_id 0
		.amdhsa_user_sgpr_kernarg_preload_length 0
		.amdhsa_user_sgpr_kernarg_preload_offset 0
		.amdhsa_user_sgpr_private_segment_size 0
		.amdhsa_wavefront_size32 1
		.amdhsa_uses_dynamic_stack 0
		.amdhsa_enable_private_segment 0
		.amdhsa_system_sgpr_workgroup_id_x 1
		.amdhsa_system_sgpr_workgroup_id_y 0
		.amdhsa_system_sgpr_workgroup_id_z 0
		.amdhsa_system_sgpr_workgroup_info 0
		.amdhsa_system_vgpr_workitem_id 0
		.amdhsa_next_free_vgpr 16
		.amdhsa_next_free_sgpr 8
		.amdhsa_named_barrier_count 0
		.amdhsa_reserve_vcc 1
		.amdhsa_float_round_mode_32 0
		.amdhsa_float_round_mode_16_64 0
		.amdhsa_float_denorm_mode_32 3
		.amdhsa_float_denorm_mode_16_64 3
		.amdhsa_fp16_overflow 0
		.amdhsa_memory_ordered 1
		.amdhsa_forward_progress 1
		.amdhsa_inst_pref_size 5
		.amdhsa_round_robin_scheduling 0
		.amdhsa_exception_fp_ieee_invalid_op 0
		.amdhsa_exception_fp_denorm_src 0
		.amdhsa_exception_fp_ieee_div_zero 0
		.amdhsa_exception_fp_ieee_overflow 0
		.amdhsa_exception_fp_ieee_underflow 0
		.amdhsa_exception_fp_ieee_inexact 0
		.amdhsa_exception_int_div_zero 0
	.end_amdhsa_kernel
	.section	.text._ZL22dequantize_block_iq1_sI6__halfEvPKvPT_,"axG",@progbits,_ZL22dequantize_block_iq1_sI6__halfEvPKvPT_,comdat
.Lfunc_end13:
	.size	_ZL22dequantize_block_iq1_sI6__halfEvPKvPT_, .Lfunc_end13-_ZL22dequantize_block_iq1_sI6__halfEvPKvPT_
                                        ; -- End function
	.set _ZL22dequantize_block_iq1_sI6__halfEvPKvPT_.num_vgpr, 16
	.set _ZL22dequantize_block_iq1_sI6__halfEvPKvPT_.num_agpr, 0
	.set _ZL22dequantize_block_iq1_sI6__halfEvPKvPT_.numbered_sgpr, 8
	.set _ZL22dequantize_block_iq1_sI6__halfEvPKvPT_.num_named_barrier, 0
	.set _ZL22dequantize_block_iq1_sI6__halfEvPKvPT_.private_seg_size, 0
	.set _ZL22dequantize_block_iq1_sI6__halfEvPKvPT_.uses_vcc, 1
	.set _ZL22dequantize_block_iq1_sI6__halfEvPKvPT_.uses_flat_scratch, 0
	.set _ZL22dequantize_block_iq1_sI6__halfEvPKvPT_.has_dyn_sized_stack, 0
	.set _ZL22dequantize_block_iq1_sI6__halfEvPKvPT_.has_recursion, 0
	.set _ZL22dequantize_block_iq1_sI6__halfEvPKvPT_.has_indirect_call, 0
	.section	.AMDGPU.csdata,"",@progbits
; Kernel info:
; codeLenInByte = 552
; TotalNumSgprs: 10
; NumVgprs: 16
; ScratchSize: 0
; MemoryBound: 0
; FloatMode: 240
; IeeeMode: 1
; LDSByteSize: 0 bytes/workgroup (compile time only)
; SGPRBlocks: 0
; VGPRBlocks: 0
; NumSGPRsForWavesPerEU: 10
; NumVGPRsForWavesPerEU: 16
; NamedBarCnt: 0
; Occupancy: 16
; WaveLimiterHint : 0
; COMPUTE_PGM_RSRC2:SCRATCH_EN: 0
; COMPUTE_PGM_RSRC2:USER_SGPR: 2
; COMPUTE_PGM_RSRC2:TRAP_HANDLER: 0
; COMPUTE_PGM_RSRC2:TGID_X_EN: 1
; COMPUTE_PGM_RSRC2:TGID_Y_EN: 0
; COMPUTE_PGM_RSRC2:TGID_Z_EN: 0
; COMPUTE_PGM_RSRC2:TIDIG_COMP_CNT: 0
	.section	.text._ZL22dequantize_block_iq1_mI6__halfEvPKvPT_,"axG",@progbits,_ZL22dequantize_block_iq1_mI6__halfEvPKvPT_,comdat
	.globl	_ZL22dequantize_block_iq1_mI6__halfEvPKvPT_ ; -- Begin function _ZL22dequantize_block_iq1_mI6__halfEvPKvPT_
	.p2align	8
	.type	_ZL22dequantize_block_iq1_mI6__halfEvPKvPT_,@function
_ZL22dequantize_block_iq1_mI6__halfEvPKvPT_: ; @_ZL22dequantize_block_iq1_mI6__halfEvPKvPT_
; %bb.0:
	s_load_b128 s[0:3], s[0:1], 0x0
	s_bfe_u32 s4, ttmp6, 0x4000c
	s_and_b32 s6, ttmp6, 15
	s_add_co_i32 s4, s4, 1
	v_dual_mov_b32 v3, 0 :: v_dual_bitop2_b32 v8, 7, v0 bitop3:0x40
	s_mul_i32 s4, ttmp9, s4
	s_getreg_b32 s7, hwreg(HW_REG_IB_STS2, 6, 4)
	s_add_co_i32 s6, s6, s4
	s_cmp_eq_u32 s7, 0
	s_mov_b32 s5, 0
	s_cselect_b32 s4, ttmp9, s6
	v_dual_mov_b32 v5, v3 :: v_dual_lshlrev_b32 v4, 2, v8
	s_mul_u64 s[6:7], s[4:5], 56
	v_dual_lshrrev_b32 v2, 3, v0 :: v_dual_lshrrev_b32 v1, 4, v0
	v_dual_mov_b32 v7, v3 :: v_dual_lshlrev_b32 v6, 1, v8
	s_wait_kmcnt 0x0
	s_add_nc_u64 s[0:1], s[0:1], s[6:7]
	s_delay_alu instid0(SALU_CYCLE_1) | instskip(NEXT) | instid1(VALU_DEP_1)
	v_add_nc_u64_e32 v[4:5], s[0:1], v[4:5]
	v_add_nc_u64_e32 v[4:5], v[4:5], v[2:3]
	v_add_nc_u32_e32 v2, v6, v1
	v_add_nc_u16 v1, v6, v1
	s_delay_alu instid0(VALU_DEP_1) | instskip(NEXT) | instid1(VALU_DEP_1)
	v_lshrrev_b16 v1, 1, v1
	v_and_b32_e32 v6, 62, v1
	s_clause 0x2
	global_load_u8 v9, v[4:5], off
	global_load_u8 v10, v2, s[0:1] offset:32
	global_load_b64 v[4:5], v3, s[0:1] offset:48
	v_add_nc_u64_e32 v[6:7], s[0:1], v[6:7]
	global_load_u16 v6, v[6:7], off offset:48
	v_lshrrev_b32_e32 v1, 1, v0
	s_wait_xcnt 0x1
	s_get_pc_i64 s[0:1]
	s_add_nc_u64 s[0:1], s[0:1], _ZL13iq1s_grid_gpu@rel64+4
	s_wait_loadcnt 0x1
	v_pk_lshrrev_b16 v4, 0x8000c, v4
	v_and_b32_e32 v1, 4, v1
	v_pk_lshrrev_b16 v5, 4, v5
	s_wait_xcnt 0x0
	s_delay_alu instid0(VALU_DEP_2) | instskip(NEXT) | instid1(VALU_DEP_2)
	v_lshrrev_b32_e32 v7, v1, v10
	v_and_b32_e32 v12, 0xf0000f00, v5
	s_delay_alu instid0(VALU_DEP_2) | instskip(NEXT) | instid1(VALU_DEP_1)
	v_dual_mov_b32 v5, v3 :: v_dual_lshlrev_b32 v1, 8, v7
	v_and_or_b32 v1, 0x700, v1, v9
	global_load_b32 v10, v1, s[0:1] scale_offset
	s_wait_xcnt 0x0
	v_dual_lshrrev_b32 v2, 16, v4 :: v_dual_bitop2_b32 v1, 3, v2 bitop3:0x40
	s_lshl_b64 s[0:1], s[4:5], 9
	s_delay_alu instid0(SALU_CYCLE_1) | instskip(NEXT) | instid1(VALU_DEP_1)
	s_add_nc_u64 s[0:1], s[2:3], s[0:1]
	v_mul_u32_u24_e32 v9, 3, v1
	s_delay_alu instid0(VALU_DEP_2) | instskip(SKIP_1) | instid1(VALU_DEP_2)
	v_and_b32_e32 v2, 0xf0, v2
	s_wait_loadcnt 0x1
	v_dual_mov_b32 v1, v3 :: v_dual_lshrrev_b32 v6, v9, v6
	s_delay_alu instid0(VALU_DEP_2) | instskip(SKIP_3) | instid1(VALU_DEP_4)
	v_or_b32_e32 v2, v2, v4
	v_lshrrev_b32_e32 v3, 16, v12
	v_mov_b32_e32 v11, 0xbf600000
	v_and_b32_e32 v4, 0x3f8, v0
	v_dual_lshlrev_b32 v6, 1, v6 :: v_dual_bitop2_b32 v2, v2, v12 bitop3:0x54
	v_lshlrev_b32_e32 v0, 6, v8
	s_delay_alu instid0(VALU_DEP_3) | instskip(NEXT) | instid1(VALU_DEP_3)
	v_lshlrev_b32_e32 v4, 1, v4
	v_and_or_b32 v6, v6, 14, 1
	s_delay_alu instid0(VALU_DEP_4) | instskip(SKIP_2) | instid1(VALU_DEP_4)
	v_or_b32_e32 v2, v2, v3
	v_and_b32_e32 v3, 8, v7
	v_add_nc_u64_e32 v[0:1], s[0:1], v[0:1]
	v_cvt_f32_ubyte0_e32 v6, v6
	s_delay_alu instid0(VALU_DEP_4) | instskip(NEXT) | instid1(VALU_DEP_4)
	v_cvt_f32_f16_e32 v7, v2
	v_cmp_eq_u32_e32 vcc_lo, 0, v3
	s_delay_alu instid0(VALU_DEP_4) | instskip(SKIP_1) | instid1(VALU_DEP_4)
	v_add_nc_u64_e32 v[4:5], v[0:1], v[4:5]
	v_cndmask_b32_e32 v2, 0xbf900000, v11, vcc_lo
	v_mul_f32_e32 v6, v7, v6
	s_wait_loadcnt 0x0
	v_bfe_u32 v3, v10, 20, 4
	v_bfe_u32 v8, v10, 12, 4
	v_lshrrev_b32_e32 v15, 28, v10
	v_and_b32_e32 v7, 0xf0f0f0f, v10
	v_bfe_u32 v11, v10, 8, 4
	v_cvt_f32_ubyte0_e32 v9, v3
	v_cvt_f32_ubyte0_e32 v8, v8
	v_and_b32_e32 v3, 15, v10
	v_bfe_u32 v12, v10, 16, 4
	v_bfe_u32 v14, v10, 4, 4
	v_cvt_f32_ubyte0_e32 v11, v11
	v_cvt_f32_ubyte3_e32 v13, v7
	v_pk_add_f32 v[8:9], v[2:3], v[8:9] op_sel_hi:[0,1]
	v_cvt_f32_ubyte0_e32 v12, v12
	v_cvt_f32_ubyte0_e32 v10, v3
	;; [unrolled: 1-line block ×3, first 2 shown]
	s_delay_alu instid0(VALU_DEP_4) | instskip(SKIP_1) | instid1(VALU_DEP_3)
	v_pk_mul_f32 v[8:9], v[6:7], v[8:9] op_sel_hi:[0,1]
	v_cvt_f32_ubyte0_e32 v7, v15
	v_pk_add_f32 v[12:13], v[2:3], v[12:13] op_sel_hi:[0,1]
	v_pk_add_f32 v[10:11], v[2:3], v[10:11] op_sel_hi:[0,1]
	s_delay_alu instid0(VALU_DEP_4)
	v_cvt_pk_f16_f32 v14, v8, v9
	v_add_f32_e32 v15, v2, v3
	v_add_f32_e32 v2, v2, v7
	v_pk_mul_f32 v[8:9], v[6:7], v[12:13] op_sel_hi:[0,1]
	v_pk_mul_f32 v[10:11], v[6:7], v[10:11] op_sel_hi:[0,1]
	v_lshrrev_b32_e32 v3, 16, v14
	v_fma_mixlo_f16 v7, v6, v15, 0
	s_delay_alu instid0(VALU_DEP_4) | instskip(NEXT) | instid1(VALU_DEP_4)
	v_cvt_pk_f16_f32 v1, v8, v9
	v_cvt_pk_f16_f32 v0, v10, v11
	s_delay_alu instid0(VALU_DEP_4) | instskip(NEXT) | instid1(VALU_DEP_4)
	v_fma_mixhi_f16 v3, v6, v2, 0
	v_pack_b32_f16 v2, v7, v14
	global_store_b128 v[4:5], v[0:3], off
	s_endpgm
	.section	.rodata,"a",@progbits
	.p2align	6, 0x0
	.amdhsa_kernel _ZL22dequantize_block_iq1_mI6__halfEvPKvPT_
		.amdhsa_group_segment_fixed_size 0
		.amdhsa_private_segment_fixed_size 0
		.amdhsa_kernarg_size 16
		.amdhsa_user_sgpr_count 2
		.amdhsa_user_sgpr_dispatch_ptr 0
		.amdhsa_user_sgpr_queue_ptr 0
		.amdhsa_user_sgpr_kernarg_segment_ptr 1
		.amdhsa_user_sgpr_dispatch_id 0
		.amdhsa_user_sgpr_kernarg_preload_length 0
		.amdhsa_user_sgpr_kernarg_preload_offset 0
		.amdhsa_user_sgpr_private_segment_size 0
		.amdhsa_wavefront_size32 1
		.amdhsa_uses_dynamic_stack 0
		.amdhsa_enable_private_segment 0
		.amdhsa_system_sgpr_workgroup_id_x 1
		.amdhsa_system_sgpr_workgroup_id_y 0
		.amdhsa_system_sgpr_workgroup_id_z 0
		.amdhsa_system_sgpr_workgroup_info 0
		.amdhsa_system_vgpr_workitem_id 0
		.amdhsa_next_free_vgpr 16
		.amdhsa_next_free_sgpr 8
		.amdhsa_named_barrier_count 0
		.amdhsa_reserve_vcc 1
		.amdhsa_float_round_mode_32 0
		.amdhsa_float_round_mode_16_64 0
		.amdhsa_float_denorm_mode_32 3
		.amdhsa_float_denorm_mode_16_64 3
		.amdhsa_fp16_overflow 0
		.amdhsa_memory_ordered 1
		.amdhsa_forward_progress 1
		.amdhsa_inst_pref_size 6
		.amdhsa_round_robin_scheduling 0
		.amdhsa_exception_fp_ieee_invalid_op 0
		.amdhsa_exception_fp_denorm_src 0
		.amdhsa_exception_fp_ieee_div_zero 0
		.amdhsa_exception_fp_ieee_overflow 0
		.amdhsa_exception_fp_ieee_underflow 0
		.amdhsa_exception_fp_ieee_inexact 0
		.amdhsa_exception_int_div_zero 0
	.end_amdhsa_kernel
	.section	.text._ZL22dequantize_block_iq1_mI6__halfEvPKvPT_,"axG",@progbits,_ZL22dequantize_block_iq1_mI6__halfEvPKvPT_,comdat
.Lfunc_end14:
	.size	_ZL22dequantize_block_iq1_mI6__halfEvPKvPT_, .Lfunc_end14-_ZL22dequantize_block_iq1_mI6__halfEvPKvPT_
                                        ; -- End function
	.set _ZL22dequantize_block_iq1_mI6__halfEvPKvPT_.num_vgpr, 16
	.set _ZL22dequantize_block_iq1_mI6__halfEvPKvPT_.num_agpr, 0
	.set _ZL22dequantize_block_iq1_mI6__halfEvPKvPT_.numbered_sgpr, 8
	.set _ZL22dequantize_block_iq1_mI6__halfEvPKvPT_.num_named_barrier, 0
	.set _ZL22dequantize_block_iq1_mI6__halfEvPKvPT_.private_seg_size, 0
	.set _ZL22dequantize_block_iq1_mI6__halfEvPKvPT_.uses_vcc, 1
	.set _ZL22dequantize_block_iq1_mI6__halfEvPKvPT_.uses_flat_scratch, 0
	.set _ZL22dequantize_block_iq1_mI6__halfEvPKvPT_.has_dyn_sized_stack, 0
	.set _ZL22dequantize_block_iq1_mI6__halfEvPKvPT_.has_recursion, 0
	.set _ZL22dequantize_block_iq1_mI6__halfEvPKvPT_.has_indirect_call, 0
	.section	.AMDGPU.csdata,"",@progbits
; Kernel info:
; codeLenInByte = 708
; TotalNumSgprs: 10
; NumVgprs: 16
; ScratchSize: 0
; MemoryBound: 0
; FloatMode: 240
; IeeeMode: 1
; LDSByteSize: 0 bytes/workgroup (compile time only)
; SGPRBlocks: 0
; VGPRBlocks: 0
; NumSGPRsForWavesPerEU: 10
; NumVGPRsForWavesPerEU: 16
; NamedBarCnt: 0
; Occupancy: 16
; WaveLimiterHint : 0
; COMPUTE_PGM_RSRC2:SCRATCH_EN: 0
; COMPUTE_PGM_RSRC2:USER_SGPR: 2
; COMPUTE_PGM_RSRC2:TRAP_HANDLER: 0
; COMPUTE_PGM_RSRC2:TGID_X_EN: 1
; COMPUTE_PGM_RSRC2:TGID_Y_EN: 0
; COMPUTE_PGM_RSRC2:TGID_Z_EN: 0
; COMPUTE_PGM_RSRC2:TIDIG_COMP_CNT: 0
	.section	.text._ZL23dequantize_block_iq4_nlI6__halfEvPKvPT_,"axG",@progbits,_ZL23dequantize_block_iq4_nlI6__halfEvPKvPT_,comdat
	.globl	_ZL23dequantize_block_iq4_nlI6__halfEvPKvPT_ ; -- Begin function _ZL23dequantize_block_iq4_nlI6__halfEvPKvPT_
	.p2align	8
	.type	_ZL23dequantize_block_iq4_nlI6__halfEvPKvPT_,@function
_ZL23dequantize_block_iq4_nlI6__halfEvPKvPT_: ; @_ZL23dequantize_block_iq4_nlI6__halfEvPKvPT_
; %bb.0:
	s_load_b128 s[0:3], s[0:1], 0x0
	s_bfe_u32 s4, ttmp6, 0x4000c
	s_and_b32 s6, ttmp6, 15
	s_add_co_i32 s4, s4, 1
	s_getreg_b32 s7, hwreg(HW_REG_IB_STS2, 6, 4)
	s_mul_i32 s4, ttmp9, s4
	s_mov_b32 s5, 0
	s_add_co_i32 s6, s6, s4
	s_cmp_eq_u32 s7, 0
	v_dual_mov_b32 v1, 0 :: v_dual_bitop2_b32 v2, 7, v0 bitop3:0x40
	s_cselect_b32 s4, ttmp9, s6
	v_lshrrev_b32_e32 v6, 1, v0
	s_mul_u64 s[6:7], s[4:5], 0x90
	s_delay_alu instid0(VALU_DEP_2) | instskip(SKIP_2) | instid1(SALU_CYCLE_1)
	v_lshlrev_b32_e32 v0, 6, v2
	s_wait_kmcnt 0x0
	s_add_nc_u64 s[0:1], s[0:1], s[6:7]
	v_mad_nc_u64_u32 v[2:3], v2, 18, s[0:1]
	s_lshl_b64 s[0:1], s[4:5], 9
	s_delay_alu instid0(SALU_CYCLE_1) | instskip(NEXT) | instid1(SALU_CYCLE_1)
	s_add_nc_u64 s[0:1], s[2:3], s[0:1]
	v_add_nc_u64_e32 v[4:5], s[0:1], v[0:1]
	v_and_b32_e32 v0, 0x1fc, v6
	s_get_pc_i64 s[0:1]
	s_add_nc_u64 s[0:1], s[0:1], _ZL13kvalues_iq4nl@rel64+4
	s_delay_alu instid0(VALU_DEP_1)
	v_add_nc_u64_e32 v[6:7], v[2:3], v[0:1]
	s_clause 0x1
	global_load_b32 v8, v[6:7], off offset:2
	global_load_u16 v9, v[2:3], off
	s_wait_loadcnt 0x1
	s_wait_xcnt 0x0
	v_and_b32_e32 v2, 15, v8
	v_bfe_u32 v3, v8, 4, 4
	v_bfe_u32 v6, v8, 8, 4
	;; [unrolled: 1-line block ×6, first 2 shown]
	v_lshrrev_b32_e32 v8, 28, v8
	s_clause 0x7
	global_load_i8 v13, v2, s[0:1]
	global_load_i8 v14, v3, s[0:1]
	;; [unrolled: 1-line block ×8, first 2 shown]
	s_wait_loadcnt 0x8
	s_wait_xcnt 0x7
	v_cvt_f32_f16_e32 v2, v9
	s_wait_loadcnt 0x7
	s_wait_xcnt 0x6
	v_cvt_f32_i32_e32 v3, v13
	s_wait_loadcnt 0x6
	s_wait_xcnt 0x5
	v_cvt_f32_i32_e32 v6, v14
	;; [unrolled: 3-line block ×4, first 2 shown]
	s_wait_loadcnt 0x3
	v_cvt_f32_i32_e32 v9, v17
	s_wait_loadcnt 0x2
	v_cvt_f32_i32_e32 v10, v18
	;; [unrolled: 2-line block ×4, first 2 shown]
	v_dual_mul_f32 v13, v2, v3 :: v_dual_lshlrev_b32 v0, 1, v0
	v_dual_mul_f32 v6, v2, v6 :: v_dual_mul_f32 v7, v2, v7
	v_dual_mul_f32 v3, v2, v9 :: v_dual_mul_f32 v9, v2, v11
	s_delay_alu instid0(VALU_DEP_4) | instskip(SKIP_2) | instid1(VALU_DEP_4)
	v_dual_mul_f32 v10, v2, v10 :: v_dual_mul_f32 v11, v2, v12
	v_mul_f32_e32 v8, v2, v8
	v_add_nc_u64_e32 v[0:1], v[4:5], v[0:1]
	v_cvt_pk_f16_f32 v3, v3, v9
	v_cvt_pk_f16_f32 v2, v13, v7
	v_cvt_pk_f16_f32 v5, v10, v11
	v_cvt_pk_f16_f32 v4, v6, v8
	s_clause 0x1
	global_store_b64 v[0:1], v[2:3], off
	global_store_b64 v[0:1], v[4:5], off offset:32
	s_endpgm
	.section	.rodata,"a",@progbits
	.p2align	6, 0x0
	.amdhsa_kernel _ZL23dequantize_block_iq4_nlI6__halfEvPKvPT_
		.amdhsa_group_segment_fixed_size 0
		.amdhsa_private_segment_fixed_size 0
		.amdhsa_kernarg_size 16
		.amdhsa_user_sgpr_count 2
		.amdhsa_user_sgpr_dispatch_ptr 0
		.amdhsa_user_sgpr_queue_ptr 0
		.amdhsa_user_sgpr_kernarg_segment_ptr 1
		.amdhsa_user_sgpr_dispatch_id 0
		.amdhsa_user_sgpr_kernarg_preload_length 0
		.amdhsa_user_sgpr_kernarg_preload_offset 0
		.amdhsa_user_sgpr_private_segment_size 0
		.amdhsa_wavefront_size32 1
		.amdhsa_uses_dynamic_stack 0
		.amdhsa_enable_private_segment 0
		.amdhsa_system_sgpr_workgroup_id_x 1
		.amdhsa_system_sgpr_workgroup_id_y 0
		.amdhsa_system_sgpr_workgroup_id_z 0
		.amdhsa_system_sgpr_workgroup_info 0
		.amdhsa_system_vgpr_workitem_id 0
		.amdhsa_next_free_vgpr 21
		.amdhsa_next_free_sgpr 8
		.amdhsa_named_barrier_count 0
		.amdhsa_reserve_vcc 0
		.amdhsa_float_round_mode_32 0
		.amdhsa_float_round_mode_16_64 0
		.amdhsa_float_denorm_mode_32 3
		.amdhsa_float_denorm_mode_16_64 3
		.amdhsa_fp16_overflow 0
		.amdhsa_memory_ordered 1
		.amdhsa_forward_progress 1
		.amdhsa_inst_pref_size 5
		.amdhsa_round_robin_scheduling 0
		.amdhsa_exception_fp_ieee_invalid_op 0
		.amdhsa_exception_fp_denorm_src 0
		.amdhsa_exception_fp_ieee_div_zero 0
		.amdhsa_exception_fp_ieee_overflow 0
		.amdhsa_exception_fp_ieee_underflow 0
		.amdhsa_exception_fp_ieee_inexact 0
		.amdhsa_exception_int_div_zero 0
	.end_amdhsa_kernel
	.section	.text._ZL23dequantize_block_iq4_nlI6__halfEvPKvPT_,"axG",@progbits,_ZL23dequantize_block_iq4_nlI6__halfEvPKvPT_,comdat
.Lfunc_end15:
	.size	_ZL23dequantize_block_iq4_nlI6__halfEvPKvPT_, .Lfunc_end15-_ZL23dequantize_block_iq4_nlI6__halfEvPKvPT_
                                        ; -- End function
	.set _ZL23dequantize_block_iq4_nlI6__halfEvPKvPT_.num_vgpr, 21
	.set _ZL23dequantize_block_iq4_nlI6__halfEvPKvPT_.num_agpr, 0
	.set _ZL23dequantize_block_iq4_nlI6__halfEvPKvPT_.numbered_sgpr, 8
	.set _ZL23dequantize_block_iq4_nlI6__halfEvPKvPT_.num_named_barrier, 0
	.set _ZL23dequantize_block_iq4_nlI6__halfEvPKvPT_.private_seg_size, 0
	.set _ZL23dequantize_block_iq4_nlI6__halfEvPKvPT_.uses_vcc, 0
	.set _ZL23dequantize_block_iq4_nlI6__halfEvPKvPT_.uses_flat_scratch, 0
	.set _ZL23dequantize_block_iq4_nlI6__halfEvPKvPT_.has_dyn_sized_stack, 0
	.set _ZL23dequantize_block_iq4_nlI6__halfEvPKvPT_.has_recursion, 0
	.set _ZL23dequantize_block_iq4_nlI6__halfEvPKvPT_.has_indirect_call, 0
	.section	.AMDGPU.csdata,"",@progbits
; Kernel info:
; codeLenInByte = 540
; TotalNumSgprs: 8
; NumVgprs: 21
; ScratchSize: 0
; MemoryBound: 0
; FloatMode: 240
; IeeeMode: 1
; LDSByteSize: 0 bytes/workgroup (compile time only)
; SGPRBlocks: 0
; VGPRBlocks: 1
; NumSGPRsForWavesPerEU: 8
; NumVGPRsForWavesPerEU: 21
; NamedBarCnt: 0
; Occupancy: 16
; WaveLimiterHint : 0
; COMPUTE_PGM_RSRC2:SCRATCH_EN: 0
; COMPUTE_PGM_RSRC2:USER_SGPR: 2
; COMPUTE_PGM_RSRC2:TRAP_HANDLER: 0
; COMPUTE_PGM_RSRC2:TGID_X_EN: 1
; COMPUTE_PGM_RSRC2:TGID_Y_EN: 0
; COMPUTE_PGM_RSRC2:TGID_Z_EN: 0
; COMPUTE_PGM_RSRC2:TIDIG_COMP_CNT: 0
	.section	.text._ZL23dequantize_block_iq4_xsI6__halfEvPKvPT_,"axG",@progbits,_ZL23dequantize_block_iq4_xsI6__halfEvPKvPT_,comdat
	.globl	_ZL23dequantize_block_iq4_xsI6__halfEvPKvPT_ ; -- Begin function _ZL23dequantize_block_iq4_xsI6__halfEvPKvPT_
	.p2align	8
	.type	_ZL23dequantize_block_iq4_xsI6__halfEvPKvPT_,@function
_ZL23dequantize_block_iq4_xsI6__halfEvPKvPT_: ; @_ZL23dequantize_block_iq4_xsI6__halfEvPKvPT_
; %bb.0:
	s_load_b128 s[0:3], s[0:1], 0x0
	s_bfe_u32 s6, ttmp6, 0x4000c
	s_and_b32 s4, ttmp6, 15
	s_add_co_i32 s6, s6, 1
	s_getreg_b32 s7, hwreg(HW_REG_IB_STS2, 6, 4)
	s_mul_i32 s6, ttmp9, s6
	v_dual_mov_b32 v3, 0 :: v_dual_bitop2_b32 v1, 7, v0 bitop3:0x40
	s_add_co_i32 s4, s4, s6
	s_cmp_eq_u32 s7, 0
	s_mov_b32 s5, 0
	s_cselect_b32 s4, ttmp9, s4
	v_dual_mov_b32 v5, v3 :: v_dual_lshrrev_b32 v8, 1, v0
	v_dual_lshlrev_b32 v2, 6, v1 :: v_dual_lshlrev_b32 v4, 4, v1
	s_mul_u64 s[6:7], s[4:5], 0x88
	s_lshl_b64 s[4:5], s[4:5], 9
	v_lshlrev_b32_e32 v1, 1, v1
	s_wait_kmcnt 0x0
	s_add_nc_u64 s[0:1], s[0:1], s[6:7]
	s_add_nc_u64 s[2:3], s[2:3], s[4:5]
	v_add_nc_u64_e32 v[4:5], s[0:1], v[4:5]
	v_add_nc_u64_e32 v[6:7], s[2:3], v[2:3]
	v_and_b32_e32 v2, 0x1fc, v8
	s_delay_alu instid0(VALU_DEP_1)
	v_add_nc_u64_e32 v[4:5], v[4:5], v[2:3]
	s_clause 0x1
	global_load_b32 v8, v[4:5], off offset:8
	global_load_b32 v9, v3, s[0:1]
	s_wait_xcnt 0x1
	v_bfe_u32 v4, v0, 1, 2
	v_dual_lshlrev_b32 v0, 2, v0 :: v_dual_lshlrev_b32 v2, 1, v2
	global_load_u8 v4, v4, s[0:1] offset:4
	s_wait_xcnt 0x0
	s_get_pc_i64 s[0:1]
	s_add_nc_u64 s[0:1], s[0:1], _ZL13kvalues_iq4nl@rel64+4
	v_and_b32_e32 v0, 4, v0
	s_wait_loadcnt 0x2
	v_and_b32_e32 v5, 15, v8
	v_bfe_u32 v10, v8, 4, 4
	v_bfe_u32 v11, v8, 8, 4
	;; [unrolled: 1-line block ×6, first 2 shown]
	v_lshrrev_b32_e32 v8, 28, v8
	s_clause 0x7
	global_load_i8 v16, v5, s[0:1]
	global_load_i8 v17, v10, s[0:1]
	global_load_i8 v18, v11, s[0:1]
	global_load_i8 v19, v12, s[0:1]
	global_load_i8 v20, v13, s[0:1]
	global_load_i8 v21, v14, s[0:1]
	global_load_i8 v22, v15, s[0:1]
	global_load_i8 v23, v8, s[0:1]
	s_wait_loadcnt 0x9
	s_wait_xcnt 0x7
	v_lshrrev_b32_e32 v5, 16, v9
	s_wait_loadcnt 0x8
	v_bfe_u32 v0, v4, v0, 4
	s_delay_alu instid0(VALU_DEP_2) | instskip(SKIP_2) | instid1(VALU_DEP_2)
	v_lshrrev_b32_e32 v1, v1, v5
	s_wait_loadcnt 0x6
	v_cvt_f32_i32_e32 v4, v17
	v_lshlrev_b32_e32 v1, 4, v1
	s_wait_loadcnt 0x5
	v_cvt_f32_i32_e32 v5, v18
	s_wait_loadcnt 0x4
	s_wait_xcnt 0x0
	v_cvt_f32_i32_e32 v8, v19
	s_wait_loadcnt 0x2
	v_cvt_f32_i32_e32 v10, v21
	s_wait_loadcnt 0x1
	v_cvt_f32_i32_e32 v11, v22
	v_and_or_b32 v0, v1, 48, v0
	v_cvt_f32_f16_e32 v1, v9
	v_cvt_f32_i32_e32 v9, v20
	s_wait_loadcnt 0x0
	v_cvt_f32_i32_e32 v12, v23
	v_subrev_nc_u32_e32 v0, 32, v0
	s_delay_alu instid0(VALU_DEP_1) | instskip(NEXT) | instid1(VALU_DEP_1)
	v_cvt_f32_i32_e32 v0, v0
	v_mul_f32_e32 v0, v1, v0
	v_cvt_f32_i32_e32 v1, v16
	s_delay_alu instid0(VALU_DEP_2) | instskip(NEXT) | instid1(VALU_DEP_2)
	v_dual_mul_f32 v5, v0, v5 :: v_dual_mul_f32 v10, v0, v10
	v_dual_mul_f32 v13, v0, v1 :: v_dual_mul_f32 v11, v0, v11
	v_dual_mul_f32 v9, v0, v9 :: v_dual_mul_f32 v12, v0, v12
	v_mul_f32_e32 v4, v0, v4
	v_mul_f32_e32 v8, v0, v8
	v_add_nc_u64_e32 v[0:1], v[6:7], v[2:3]
	s_delay_alu instid0(VALU_DEP_4)
	v_cvt_pk_f16_f32 v3, v9, v11
	v_cvt_pk_f16_f32 v2, v13, v5
	;; [unrolled: 1-line block ×4, first 2 shown]
	s_clause 0x1
	global_store_b64 v[0:1], v[2:3], off
	global_store_b64 v[0:1], v[4:5], off offset:32
	s_endpgm
	.section	.rodata,"a",@progbits
	.p2align	6, 0x0
	.amdhsa_kernel _ZL23dequantize_block_iq4_xsI6__halfEvPKvPT_
		.amdhsa_group_segment_fixed_size 0
		.amdhsa_private_segment_fixed_size 0
		.amdhsa_kernarg_size 16
		.amdhsa_user_sgpr_count 2
		.amdhsa_user_sgpr_dispatch_ptr 0
		.amdhsa_user_sgpr_queue_ptr 0
		.amdhsa_user_sgpr_kernarg_segment_ptr 1
		.amdhsa_user_sgpr_dispatch_id 0
		.amdhsa_user_sgpr_kernarg_preload_length 0
		.amdhsa_user_sgpr_kernarg_preload_offset 0
		.amdhsa_user_sgpr_private_segment_size 0
		.amdhsa_wavefront_size32 1
		.amdhsa_uses_dynamic_stack 0
		.amdhsa_enable_private_segment 0
		.amdhsa_system_sgpr_workgroup_id_x 1
		.amdhsa_system_sgpr_workgroup_id_y 0
		.amdhsa_system_sgpr_workgroup_id_z 0
		.amdhsa_system_sgpr_workgroup_info 0
		.amdhsa_system_vgpr_workitem_id 0
		.amdhsa_next_free_vgpr 24
		.amdhsa_next_free_sgpr 8
		.amdhsa_named_barrier_count 0
		.amdhsa_reserve_vcc 0
		.amdhsa_float_round_mode_32 0
		.amdhsa_float_round_mode_16_64 0
		.amdhsa_float_denorm_mode_32 3
		.amdhsa_float_denorm_mode_16_64 3
		.amdhsa_fp16_overflow 0
		.amdhsa_memory_ordered 1
		.amdhsa_forward_progress 1
		.amdhsa_inst_pref_size 5
		.amdhsa_round_robin_scheduling 0
		.amdhsa_exception_fp_ieee_invalid_op 0
		.amdhsa_exception_fp_denorm_src 0
		.amdhsa_exception_fp_ieee_div_zero 0
		.amdhsa_exception_fp_ieee_overflow 0
		.amdhsa_exception_fp_ieee_underflow 0
		.amdhsa_exception_fp_ieee_inexact 0
		.amdhsa_exception_int_div_zero 0
	.end_amdhsa_kernel
	.section	.text._ZL23dequantize_block_iq4_xsI6__halfEvPKvPT_,"axG",@progbits,_ZL23dequantize_block_iq4_xsI6__halfEvPKvPT_,comdat
.Lfunc_end16:
	.size	_ZL23dequantize_block_iq4_xsI6__halfEvPKvPT_, .Lfunc_end16-_ZL23dequantize_block_iq4_xsI6__halfEvPKvPT_
                                        ; -- End function
	.set _ZL23dequantize_block_iq4_xsI6__halfEvPKvPT_.num_vgpr, 24
	.set _ZL23dequantize_block_iq4_xsI6__halfEvPKvPT_.num_agpr, 0
	.set _ZL23dequantize_block_iq4_xsI6__halfEvPKvPT_.numbered_sgpr, 8
	.set _ZL23dequantize_block_iq4_xsI6__halfEvPKvPT_.num_named_barrier, 0
	.set _ZL23dequantize_block_iq4_xsI6__halfEvPKvPT_.private_seg_size, 0
	.set _ZL23dequantize_block_iq4_xsI6__halfEvPKvPT_.uses_vcc, 0
	.set _ZL23dequantize_block_iq4_xsI6__halfEvPKvPT_.uses_flat_scratch, 0
	.set _ZL23dequantize_block_iq4_xsI6__halfEvPKvPT_.has_dyn_sized_stack, 0
	.set _ZL23dequantize_block_iq4_xsI6__halfEvPKvPT_.has_recursion, 0
	.set _ZL23dequantize_block_iq4_xsI6__halfEvPKvPT_.has_indirect_call, 0
	.section	.AMDGPU.csdata,"",@progbits
; Kernel info:
; codeLenInByte = 616
; TotalNumSgprs: 8
; NumVgprs: 24
; ScratchSize: 0
; MemoryBound: 0
; FloatMode: 240
; IeeeMode: 1
; LDSByteSize: 0 bytes/workgroup (compile time only)
; SGPRBlocks: 0
; VGPRBlocks: 1
; NumSGPRsForWavesPerEU: 8
; NumVGPRsForWavesPerEU: 24
; NamedBarCnt: 0
; Occupancy: 16
; WaveLimiterHint : 0
; COMPUTE_PGM_RSRC2:SCRATCH_EN: 0
; COMPUTE_PGM_RSRC2:USER_SGPR: 2
; COMPUTE_PGM_RSRC2:TRAP_HANDLER: 0
; COMPUTE_PGM_RSRC2:TGID_X_EN: 1
; COMPUTE_PGM_RSRC2:TGID_Y_EN: 0
; COMPUTE_PGM_RSRC2:TGID_Z_EN: 0
; COMPUTE_PGM_RSRC2:TIDIG_COMP_CNT: 0
	.section	.text._ZL22dequantize_block_iq3_sI6__halfEvPKvPT_,"axG",@progbits,_ZL22dequantize_block_iq3_sI6__halfEvPKvPT_,comdat
	.globl	_ZL22dequantize_block_iq3_sI6__halfEvPKvPT_ ; -- Begin function _ZL22dequantize_block_iq3_sI6__halfEvPKvPT_
	.p2align	8
	.type	_ZL22dequantize_block_iq3_sI6__halfEvPKvPT_,@function
_ZL22dequantize_block_iq3_sI6__halfEvPKvPT_: ; @_ZL22dequantize_block_iq3_sI6__halfEvPKvPT_
; %bb.0:
	s_load_b128 s[0:3], s[0:1], 0x0
	s_bfe_u32 s6, ttmp6, 0x4000c
	s_and_b32 s4, ttmp6, 15
	s_add_co_i32 s6, s6, 1
	s_getreg_b32 s7, hwreg(HW_REG_IB_STS2, 6, 4)
	s_mul_i32 s6, ttmp9, s6
	v_dual_mov_b32 v3, 0 :: v_dual_bitop2_b32 v4, 7, v0 bitop3:0x40
	s_add_co_i32 s4, s4, s6
	s_cmp_eq_u32 s7, 0
	s_mov_b32 s5, 0
	s_cselect_b32 s4, ttmp9, s4
	v_dual_mov_b32 v7, v3 :: v_dual_lshlrev_b32 v6, 3, v4
	s_mul_u64 s[6:7], s[4:5], 0x6e
	v_dual_mov_b32 v9, v3 :: v_dual_lshrrev_b32 v2, 3, v0
	s_delay_alu instid0(VALU_DEP_1) | instskip(SKIP_2) | instid1(SALU_CYCLE_1)
	v_dual_mov_b32 v5, v3 :: v_dual_lshlrev_b32 v8, 1, v2
	s_wait_kmcnt 0x0
	s_add_nc_u64 s[0:1], s[0:1], s[6:7]
	v_add_nc_u64_e32 v[6:7], s[0:1], v[6:7]
	s_delay_alu instid0(VALU_DEP_1)
	v_add_nc_u64_e32 v[6:7], v[6:7], v[8:9]
	s_clause 0x1
	global_load_u8 v1, v4, s[0:1] offset:66
	global_load_u16 v9, v[6:7], off offset:2
	s_wait_xcnt 0x0
	v_add_nc_u64_e32 v[6:7], s[0:1], v[4:5]
	v_bfe_u32 v5, v0, 1, 2
	global_load_u8 v5, v5, s[0:1] offset:106
	v_mad_co_u64_u32 v[6:7], null, v4, 3, v[6:7]
	s_delay_alu instid0(VALU_DEP_1)
	v_add_nc_u64_e32 v[6:7], v[6:7], v[2:3]
	v_dual_sub_nc_u32 v2, 8, v8 :: v_dual_sub_nc_u32 v8, 7, v8
	s_clause 0x1
	global_load_u16 v10, v3, s[0:1]
	global_load_i8 v11, v[6:7], off offset:74
	s_wait_xcnt 0x1
	s_get_pc_i64 s[0:1]
	s_add_nc_u64 s[0:1], s[0:1], _ZL9iq3s_grid@rel64+4
	s_wait_loadcnt 0x4
	v_dual_lshlrev_b32 v2, v2, v1 :: v_dual_lshlrev_b32 v1, v8, v1
	s_wait_loadcnt 0x3
	s_wait_xcnt 0x0
	v_and_b32_e32 v6, 0xff, v9
	v_lshrrev_b16 v7, 8, v9
	s_delay_alu instid0(VALU_DEP_2) | instskip(NEXT) | instid1(VALU_DEP_2)
	v_and_or_b32 v2, 0x100, v2, v6
	v_and_b32_e32 v6, 0xffff, v7
	global_load_b32 v7, v2, s[0:1] scale_offset
	v_and_or_b32 v1, 0x100, v1, v6
	global_load_b32 v6, v1, s[0:1] scale_offset
	s_wait_xcnt 0x0
	v_lshlrev_b32_e32 v1, 2, v0
	s_lshl_b64 s[0:1], s[4:5], 9
	s_delay_alu instid0(SALU_CYCLE_1) | instskip(NEXT) | instid1(VALU_DEP_1)
	s_add_nc_u64 s[0:1], s[2:3], s[0:1]
	v_and_b32_e32 v1, 4, v1
	s_wait_loadcnt 0x4
	s_delay_alu instid0(VALU_DEP_1) | instskip(SKIP_1) | instid1(VALU_DEP_2)
	v_dual_mov_b32 v1, v3 :: v_dual_lshrrev_b32 v2, v1, v5
	v_and_b32_e32 v5, 0x3f8, v0
	v_dual_lshlrev_b32 v0, 6, v4 :: v_dual_lshlrev_b32 v8, 1, v2
	s_delay_alu instid0(VALU_DEP_2) | instskip(SKIP_2) | instid1(VALU_DEP_3)
	v_lshlrev_b32_e32 v2, 1, v5
	s_wait_loadcnt 0x3
	v_cvt_f32_f16_e32 v5, v10
	v_add_nc_u64_e32 v[0:1], s[0:1], v[0:1]
	v_and_or_b32 v4, v8, 30, 1
	s_wait_loadcnt 0x2
	v_and_b32_e32 v8, 1, v11
	s_delay_alu instid0(VALU_DEP_2) | instskip(SKIP_1) | instid1(VALU_DEP_3)
	v_cvt_f32_ubyte0_e32 v4, v4
	v_and_b32_e32 v9, 16, v11
	v_cmp_eq_u16_e32 vcc_lo, 0, v8
	s_delay_alu instid0(VALU_DEP_3)
	v_mul_f32_e32 v4, v5, v4
	s_wait_loadcnt 0x1
	v_cvt_f32_ubyte0_e32 v5, v7
	v_and_b32_e32 v10, 2, v11
	v_cvt_f32_ubyte2_e32 v17, v7
	v_and_b32_e32 v13, 4, v11
	v_cvt_f32_ubyte1_e32 v16, v7
	v_dual_mul_f32 v5, v4, v5 :: v_dual_bitop2_b32 v14, 64, v11 bitop3:0x40
	v_cvt_f32_ubyte3_e32 v7, v7
	s_wait_loadcnt 0x0
	v_cvt_f32_ubyte0_e32 v18, v6
	v_dual_mul_f32 v17, v4, v17 :: v_dual_bitop2_b32 v15, 8, v11 bitop3:0x40
	v_cndmask_b32_e64 v8, -v5, v5, vcc_lo
	v_cmp_eq_u16_e32 vcc_lo, 0, v13
	s_delay_alu instid0(VALU_DEP_4)
	v_dual_mul_f32 v7, v4, v7 :: v_dual_mul_f32 v5, v4, v18
	v_dual_mul_f32 v16, v4, v16 :: v_dual_bitop2_b32 v12, 32, v11 bitop3:0x40
	v_cndmask_b32_e64 v13, -v17, v17, vcc_lo
	v_cmp_eq_u16_e32 vcc_lo, 0, v15
	v_cvt_f32_ubyte1_e32 v19, v6
	v_cvt_f32_ubyte2_e32 v20, v6
	v_cvt_f32_ubyte3_e32 v6, v6
	v_cndmask_b32_e64 v7, -v7, v7, vcc_lo
	v_cmp_eq_u16_e32 vcc_lo, 0, v9
	s_delay_alu instid0(VALU_DEP_4) | instskip(NEXT) | instid1(VALU_DEP_4)
	v_dual_mul_f32 v18, v4, v19 :: v_dual_mul_f32 v17, v4, v20
	v_dual_mul_f32 v4, v4, v6 :: v_dual_cndmask_b32 v6, -v5, v5, vcc_lo
	v_cmp_eq_u16_e32 vcc_lo, 0, v12
	s_delay_alu instid0(VALU_DEP_3)
	v_cndmask_b32_e64 v9, -v18, v18, vcc_lo
	v_cmp_eq_u16_e32 vcc_lo, 0, v14
	v_cndmask_b32_e64 v12, -v17, v17, vcc_lo
	v_cmp_gt_i16_e32 vcc_lo, 0, v11
	v_cndmask_b32_e64 v11, v4, -v4, vcc_lo
	v_cmp_eq_u16_e32 vcc_lo, 0, v10
	v_add_nc_u64_e32 v[4:5], v[0:1], v[2:3]
	v_cvt_pk_f16_f32 v1, v13, v7
	v_cvt_pk_f16_f32 v2, v6, v9
	;; [unrolled: 1-line block ×3, first 2 shown]
	v_cndmask_b32_e64 v10, -v16, v16, vcc_lo
	s_delay_alu instid0(VALU_DEP_1)
	v_cvt_pk_f16_f32 v0, v8, v10
	global_store_b128 v[4:5], v[0:3], off
	s_endpgm
	.section	.rodata,"a",@progbits
	.p2align	6, 0x0
	.amdhsa_kernel _ZL22dequantize_block_iq3_sI6__halfEvPKvPT_
		.amdhsa_group_segment_fixed_size 0
		.amdhsa_private_segment_fixed_size 0
		.amdhsa_kernarg_size 16
		.amdhsa_user_sgpr_count 2
		.amdhsa_user_sgpr_dispatch_ptr 0
		.amdhsa_user_sgpr_queue_ptr 0
		.amdhsa_user_sgpr_kernarg_segment_ptr 1
		.amdhsa_user_sgpr_dispatch_id 0
		.amdhsa_user_sgpr_kernarg_preload_length 0
		.amdhsa_user_sgpr_kernarg_preload_offset 0
		.amdhsa_user_sgpr_private_segment_size 0
		.amdhsa_wavefront_size32 1
		.amdhsa_uses_dynamic_stack 0
		.amdhsa_enable_private_segment 0
		.amdhsa_system_sgpr_workgroup_id_x 1
		.amdhsa_system_sgpr_workgroup_id_y 0
		.amdhsa_system_sgpr_workgroup_id_z 0
		.amdhsa_system_sgpr_workgroup_info 0
		.amdhsa_system_vgpr_workitem_id 0
		.amdhsa_next_free_vgpr 21
		.amdhsa_next_free_sgpr 8
		.amdhsa_named_barrier_count 0
		.amdhsa_reserve_vcc 1
		.amdhsa_float_round_mode_32 0
		.amdhsa_float_round_mode_16_64 0
		.amdhsa_float_denorm_mode_32 3
		.amdhsa_float_denorm_mode_16_64 3
		.amdhsa_fp16_overflow 0
		.amdhsa_memory_ordered 1
		.amdhsa_forward_progress 1
		.amdhsa_inst_pref_size 6
		.amdhsa_round_robin_scheduling 0
		.amdhsa_exception_fp_ieee_invalid_op 0
		.amdhsa_exception_fp_denorm_src 0
		.amdhsa_exception_fp_ieee_div_zero 0
		.amdhsa_exception_fp_ieee_overflow 0
		.amdhsa_exception_fp_ieee_underflow 0
		.amdhsa_exception_fp_ieee_inexact 0
		.amdhsa_exception_int_div_zero 0
	.end_amdhsa_kernel
	.section	.text._ZL22dequantize_block_iq3_sI6__halfEvPKvPT_,"axG",@progbits,_ZL22dequantize_block_iq3_sI6__halfEvPKvPT_,comdat
.Lfunc_end17:
	.size	_ZL22dequantize_block_iq3_sI6__halfEvPKvPT_, .Lfunc_end17-_ZL22dequantize_block_iq3_sI6__halfEvPKvPT_
                                        ; -- End function
	.set _ZL22dequantize_block_iq3_sI6__halfEvPKvPT_.num_vgpr, 21
	.set _ZL22dequantize_block_iq3_sI6__halfEvPKvPT_.num_agpr, 0
	.set _ZL22dequantize_block_iq3_sI6__halfEvPKvPT_.numbered_sgpr, 8
	.set _ZL22dequantize_block_iq3_sI6__halfEvPKvPT_.num_named_barrier, 0
	.set _ZL22dequantize_block_iq3_sI6__halfEvPKvPT_.private_seg_size, 0
	.set _ZL22dequantize_block_iq3_sI6__halfEvPKvPT_.uses_vcc, 1
	.set _ZL22dequantize_block_iq3_sI6__halfEvPKvPT_.uses_flat_scratch, 0
	.set _ZL22dequantize_block_iq3_sI6__halfEvPKvPT_.has_dyn_sized_stack, 0
	.set _ZL22dequantize_block_iq3_sI6__halfEvPKvPT_.has_recursion, 0
	.set _ZL22dequantize_block_iq3_sI6__halfEvPKvPT_.has_indirect_call, 0
	.section	.AMDGPU.csdata,"",@progbits
; Kernel info:
; codeLenInByte = 736
; TotalNumSgprs: 10
; NumVgprs: 21
; ScratchSize: 0
; MemoryBound: 0
; FloatMode: 240
; IeeeMode: 1
; LDSByteSize: 0 bytes/workgroup (compile time only)
; SGPRBlocks: 0
; VGPRBlocks: 1
; NumSGPRsForWavesPerEU: 10
; NumVGPRsForWavesPerEU: 21
; NamedBarCnt: 0
; Occupancy: 16
; WaveLimiterHint : 0
; COMPUTE_PGM_RSRC2:SCRATCH_EN: 0
; COMPUTE_PGM_RSRC2:USER_SGPR: 2
; COMPUTE_PGM_RSRC2:TRAP_HANDLER: 0
; COMPUTE_PGM_RSRC2:TGID_X_EN: 1
; COMPUTE_PGM_RSRC2:TGID_Y_EN: 0
; COMPUTE_PGM_RSRC2:TGID_Z_EN: 0
; COMPUTE_PGM_RSRC2:TIDIG_COMP_CNT: 0
	.section	.text._ZL22dequantize_block_mxfp4I6__halfEvPKvPT_,"axG",@progbits,_ZL22dequantize_block_mxfp4I6__halfEvPKvPT_,comdat
	.globl	_ZL22dequantize_block_mxfp4I6__halfEvPKvPT_ ; -- Begin function _ZL22dequantize_block_mxfp4I6__halfEvPKvPT_
	.p2align	8
	.type	_ZL22dequantize_block_mxfp4I6__halfEvPKvPT_,@function
_ZL22dequantize_block_mxfp4I6__halfEvPKvPT_: ; @_ZL22dequantize_block_mxfp4I6__halfEvPKvPT_
; %bb.0:
	s_load_b128 s[0:3], s[0:1], 0x0
	s_bfe_u32 s4, ttmp6, 0x4000c
	s_and_b32 s6, ttmp6, 15
	s_add_co_i32 s4, s4, 1
	s_getreg_b32 s7, hwreg(HW_REG_IB_STS2, 6, 4)
	s_mul_i32 s4, ttmp9, s4
	s_mov_b32 s5, 0
	s_add_co_i32 s6, s6, s4
	s_cmp_eq_u32 s7, 0
	v_dual_mov_b32 v1, 0 :: v_dual_bitop2_b32 v2, 7, v0 bitop3:0x40
	s_cselect_b32 s4, ttmp9, s6
	v_lshrrev_b32_e32 v6, 1, v0
	s_mul_u64 s[6:7], s[4:5], 0x88
	s_delay_alu instid0(VALU_DEP_2) | instskip(SKIP_2) | instid1(SALU_CYCLE_1)
	v_lshlrev_b32_e32 v0, 6, v2
	s_wait_kmcnt 0x0
	s_add_nc_u64 s[0:1], s[0:1], s[6:7]
	v_mad_nc_u64_u32 v[2:3], v2, 17, s[0:1]
	s_lshl_b64 s[0:1], s[4:5], 9
	s_delay_alu instid0(SALU_CYCLE_1) | instskip(NEXT) | instid1(SALU_CYCLE_1)
	s_add_nc_u64 s[0:1], s[2:3], s[0:1]
	v_add_nc_u64_e32 v[4:5], s[0:1], v[0:1]
	v_and_b32_e32 v0, 0x1fc, v6
	s_get_pc_i64 s[0:1]
	s_add_nc_u64 s[0:1], s[0:1], _ZL13kvalues_mxfp4@rel64+4
	s_delay_alu instid0(VALU_DEP_1) | instskip(SKIP_4) | instid1(VALU_DEP_1)
	v_add_nc_u64_e32 v[6:7], v[2:3], v[0:1]
	s_clause 0x1
	global_load_b32 v8, v[6:7], off offset:1
	global_load_u8 v9, v[2:3], off
	v_lshlrev_b32_e32 v0, 1, v0
	v_add_nc_u64_e32 v[0:1], v[4:5], v[0:1]
	s_wait_loadcnt 0x1
	s_wait_xcnt 0x0
	v_and_b32_e32 v2, 15, v8
	v_bfe_u32 v3, v8, 4, 4
	v_bfe_u32 v6, v8, 8, 4
	;; [unrolled: 1-line block ×6, first 2 shown]
	v_lshrrev_b32_e32 v8, 28, v8
	s_clause 0x7
	global_load_i8 v13, v2, s[0:1]
	global_load_i8 v14, v3, s[0:1]
	;; [unrolled: 1-line block ×8, first 2 shown]
	s_wait_loadcnt 0x8
	s_wait_xcnt 0x7
	v_lshlrev_b32_e32 v2, 23, v9
	v_cmp_ne_u32_e32 vcc_lo, 0, v9
	s_delay_alu instid0(VALU_DEP_2)
	v_cndmask_b32_e32 v2, 0x400000, v2, vcc_lo
	s_wait_loadcnt 0x7
	s_wait_xcnt 0x6
	v_cvt_f32_i32_e32 v3, v13
	s_wait_loadcnt 0x6
	s_wait_xcnt 0x5
	v_cvt_f32_i32_e32 v6, v14
	;; [unrolled: 3-line block ×4, first 2 shown]
	s_wait_loadcnt 0x3
	v_cvt_f32_i32_e32 v9, v17
	s_wait_loadcnt 0x2
	v_cvt_f32_i32_e32 v10, v18
	;; [unrolled: 2-line block ×3, first 2 shown]
	v_mul_f32_e32 v7, v2, v7
	s_wait_loadcnt 0x0
	v_cvt_f32_i32_e32 v12, v20
	s_delay_alu instid0(VALU_DEP_2) | instskip(SKIP_3) | instid1(VALU_DEP_3)
	v_mul_f32_e32 v7, 0.5, v7
	v_dual_mul_f32 v3, v2, v3 :: v_dual_mul_f32 v6, v2, v6
	v_dual_mul_f32 v9, v2, v9 :: v_dual_mul_f32 v10, v2, v10
	v_dual_mul_f32 v11, v2, v11 :: v_dual_mul_f32 v8, v2, v8
	v_dual_mul_f32 v2, v2, v12 :: v_dual_mul_f32 v12, 0.5, v3
	s_delay_alu instid0(VALU_DEP_3) | instskip(NEXT) | instid1(VALU_DEP_3)
	v_dual_mul_f32 v6, 0.5, v6 :: v_dual_mul_f32 v3, 0.5, v9
	v_dual_mul_f32 v9, 0.5, v11 :: v_dual_mul_f32 v10, 0.5, v10
	s_delay_alu instid0(VALU_DEP_3) | instskip(NEXT) | instid1(VALU_DEP_4)
	v_dual_mul_f32 v8, 0.5, v8 :: v_dual_mul_f32 v11, 0.5, v2
	v_cvt_pk_f16_f32 v2, v12, v7
	s_delay_alu instid0(VALU_DEP_3) | instskip(NEXT) | instid1(VALU_DEP_3)
	v_cvt_pk_f16_f32 v3, v3, v9
	v_cvt_pk_f16_f32 v4, v6, v8
	s_delay_alu instid0(VALU_DEP_4)
	v_cvt_pk_f16_f32 v5, v10, v11
	s_clause 0x1
	global_store_b64 v[0:1], v[2:3], off
	global_store_b64 v[0:1], v[4:5], off offset:32
	s_endpgm
	.section	.rodata,"a",@progbits
	.p2align	6, 0x0
	.amdhsa_kernel _ZL22dequantize_block_mxfp4I6__halfEvPKvPT_
		.amdhsa_group_segment_fixed_size 0
		.amdhsa_private_segment_fixed_size 0
		.amdhsa_kernarg_size 16
		.amdhsa_user_sgpr_count 2
		.amdhsa_user_sgpr_dispatch_ptr 0
		.amdhsa_user_sgpr_queue_ptr 0
		.amdhsa_user_sgpr_kernarg_segment_ptr 1
		.amdhsa_user_sgpr_dispatch_id 0
		.amdhsa_user_sgpr_kernarg_preload_length 0
		.amdhsa_user_sgpr_kernarg_preload_offset 0
		.amdhsa_user_sgpr_private_segment_size 0
		.amdhsa_wavefront_size32 1
		.amdhsa_uses_dynamic_stack 0
		.amdhsa_enable_private_segment 0
		.amdhsa_system_sgpr_workgroup_id_x 1
		.amdhsa_system_sgpr_workgroup_id_y 0
		.amdhsa_system_sgpr_workgroup_id_z 0
		.amdhsa_system_sgpr_workgroup_info 0
		.amdhsa_system_vgpr_workitem_id 0
		.amdhsa_next_free_vgpr 21
		.amdhsa_next_free_sgpr 8
		.amdhsa_named_barrier_count 0
		.amdhsa_reserve_vcc 1
		.amdhsa_float_round_mode_32 0
		.amdhsa_float_round_mode_16_64 0
		.amdhsa_float_denorm_mode_32 3
		.amdhsa_float_denorm_mode_16_64 3
		.amdhsa_fp16_overflow 0
		.amdhsa_memory_ordered 1
		.amdhsa_forward_progress 1
		.amdhsa_inst_pref_size 5
		.amdhsa_round_robin_scheduling 0
		.amdhsa_exception_fp_ieee_invalid_op 0
		.amdhsa_exception_fp_denorm_src 0
		.amdhsa_exception_fp_ieee_div_zero 0
		.amdhsa_exception_fp_ieee_overflow 0
		.amdhsa_exception_fp_ieee_underflow 0
		.amdhsa_exception_fp_ieee_inexact 0
		.amdhsa_exception_int_div_zero 0
	.end_amdhsa_kernel
	.section	.text._ZL22dequantize_block_mxfp4I6__halfEvPKvPT_,"axG",@progbits,_ZL22dequantize_block_mxfp4I6__halfEvPKvPT_,comdat
.Lfunc_end18:
	.size	_ZL22dequantize_block_mxfp4I6__halfEvPKvPT_, .Lfunc_end18-_ZL22dequantize_block_mxfp4I6__halfEvPKvPT_
                                        ; -- End function
	.set _ZL22dequantize_block_mxfp4I6__halfEvPKvPT_.num_vgpr, 21
	.set _ZL22dequantize_block_mxfp4I6__halfEvPKvPT_.num_agpr, 0
	.set _ZL22dequantize_block_mxfp4I6__halfEvPKvPT_.numbered_sgpr, 8
	.set _ZL22dequantize_block_mxfp4I6__halfEvPKvPT_.num_named_barrier, 0
	.set _ZL22dequantize_block_mxfp4I6__halfEvPKvPT_.private_seg_size, 0
	.set _ZL22dequantize_block_mxfp4I6__halfEvPKvPT_.uses_vcc, 1
	.set _ZL22dequantize_block_mxfp4I6__halfEvPKvPT_.uses_flat_scratch, 0
	.set _ZL22dequantize_block_mxfp4I6__halfEvPKvPT_.has_dyn_sized_stack, 0
	.set _ZL22dequantize_block_mxfp4I6__halfEvPKvPT_.has_recursion, 0
	.set _ZL22dequantize_block_mxfp4I6__halfEvPKvPT_.has_indirect_call, 0
	.section	.AMDGPU.csdata,"",@progbits
; Kernel info:
; codeLenInByte = 604
; TotalNumSgprs: 10
; NumVgprs: 21
; ScratchSize: 0
; MemoryBound: 0
; FloatMode: 240
; IeeeMode: 1
; LDSByteSize: 0 bytes/workgroup (compile time only)
; SGPRBlocks: 0
; VGPRBlocks: 1
; NumSGPRsForWavesPerEU: 10
; NumVGPRsForWavesPerEU: 21
; NamedBarCnt: 0
; Occupancy: 16
; WaveLimiterHint : 0
; COMPUTE_PGM_RSRC2:SCRATCH_EN: 0
; COMPUTE_PGM_RSRC2:USER_SGPR: 2
; COMPUTE_PGM_RSRC2:TRAP_HANDLER: 0
; COMPUTE_PGM_RSRC2:TGID_X_EN: 1
; COMPUTE_PGM_RSRC2:TGID_Y_EN: 0
; COMPUTE_PGM_RSRC2:TGID_Z_EN: 0
; COMPUTE_PGM_RSRC2:TIDIG_COMP_CNT: 0
	.section	.text._ZL22dequantize_block_nvfp4I6__halfEvPKvPT_l,"axG",@progbits,_ZL22dequantize_block_nvfp4I6__halfEvPKvPT_l,comdat
	.globl	_ZL22dequantize_block_nvfp4I6__halfEvPKvPT_l ; -- Begin function _ZL22dequantize_block_nvfp4I6__halfEvPKvPT_l
	.p2align	8
	.type	_ZL22dequantize_block_nvfp4I6__halfEvPKvPT_l,@function
_ZL22dequantize_block_nvfp4I6__halfEvPKvPT_l: ; @_ZL22dequantize_block_nvfp4I6__halfEvPKvPT_l
; %bb.0:
	s_load_b64 s[4:5], s[0:1], 0x10
	s_bfe_u32 s2, ttmp6, 0x4000c
	s_and_b32 s3, ttmp6, 15
	s_add_co_i32 s2, s2, 1
	s_getreg_b32 s6, hwreg(HW_REG_IB_STS2, 6, 4)
	s_mul_i32 s2, ttmp9, s2
	s_mov_b32 s7, 0
	s_add_co_i32 s3, s3, s2
	s_cmp_eq_u32 s6, 0
	s_cselect_b32 s6, ttmp9, s3
	s_delay_alu instid0(SALU_CYCLE_1)
	s_lshl_b64 s[2:3], s[6:7], 6
	s_wait_kmcnt 0x0
	v_cmp_ge_i64_e64 s4, s[2:3], s[4:5]
	s_and_b32 vcc_lo, exec_lo, s4
	s_cbranch_vccnz .LBB19_8
; %bb.1:
	s_load_b64 s[4:5], s[0:1], 0x0
	v_lshrrev_b32_e32 v1, 3, v0
	s_mul_u64 s[8:9], s[6:7], 36
	s_mov_b32 s6, exec_lo
	s_wait_kmcnt 0x0
	s_add_nc_u64 s[4:5], s[4:5], s[8:9]
	global_load_u8 v2, v1, s[4:5]
	s_wait_loadcnt 0x0
	v_cmpx_lt_i16_e32 0x7e, v2
	s_xor_b32 s6, exec_lo, s6
; %bb.2:
	v_cmp_ne_u16_e32 vcc_lo, 0x7f, v2
	s_and_b32 s7, vcc_lo, exec_lo
; %bb.3:
	s_and_not1_saveexec_b32 s6, s6
; %bb.4:
	v_cmp_ne_u16_e32 vcc_lo, 0, v2
	s_and_not1_b32 s7, s7, exec_lo
	s_and_b32 s8, vcc_lo, exec_lo
	s_delay_alu instid0(SALU_CYCLE_1)
	s_or_b32 s7, s7, s8
; %bb.5:
	s_or_b32 exec_lo, exec_lo, s6
	s_load_b64 s[0:1], s[0:1], 0x8
	v_dual_mov_b32 v3, 0 :: v_dual_mov_b32 v4, 0
	s_and_saveexec_b32 s6, s7
	s_cbranch_execz .LBB19_7
; %bb.6:
	v_and_b32_e32 v2, 0xffff, v2
	s_delay_alu instid0(VALU_DEP_1) | instskip(SKIP_1) | instid1(VALU_DEP_2)
	v_dual_mov_b32 v5, 1.0 :: v_dual_bitop2_b32 v4, 7, v2 bitop3:0x40
	v_bfe_u32 v2, v2, 3, 4
	v_cvt_f32_ubyte0_e32 v4, v4
	s_delay_alu instid0(VALU_DEP_2) | instskip(SKIP_1) | instid1(VALU_DEP_3)
	v_add_nc_u32_e32 v6, -7, v2
	v_cmp_eq_u32_e32 vcc_lo, 0, v2
	v_fmamk_f32 v5, v4, 0x3e000000, v5
	s_delay_alu instid0(VALU_DEP_1) | instskip(NEXT) | instid1(VALU_DEP_4)
	v_cndmask_b32_e32 v2, v5, v4, vcc_lo
	v_cndmask_b32_e64 v4, v6, -9, vcc_lo
	s_delay_alu instid0(VALU_DEP_1) | instskip(NEXT) | instid1(VALU_DEP_1)
	v_ldexp_f32 v2, v2, v4
	v_mul_f32_e32 v4, 0.5, v2
.LBB19_7:
	s_or_b32 exec_lo, exec_lo, s6
	global_load_u8 v5, v0, s[4:5] offset:4
	s_wait_xcnt 0x0
	s_get_pc_i64 s[4:5]
	s_add_nc_u64 s[4:5], s[4:5], _ZL13kvalues_mxfp4@rel64+4
	s_lshl_b64 s[2:3], s[2:3], 1
	s_wait_kmcnt 0x0
	s_add_nc_u64 s[0:1], s[0:1], s[2:3]
	s_wait_loadcnt 0x0
	v_and_b32_e32 v2, 15, v5
	s_delay_alu instid0(VALU_DEP_1)
	v_add_nc_u64_e32 v[6:7], s[4:5], v[2:3]
	v_lshrrev_b32_e32 v2, 4, v5
	s_clause 0x1
	global_load_i8 v5, v[6:7], off
	global_load_i8 v8, v2, s[4:5]
	s_wait_xcnt 0x0
	v_dual_lshlrev_b32 v2, 5, v1 :: v_dual_bitop2_b32 v6, 7, v0 bitop3:0x40
	s_delay_alu instid0(VALU_DEP_1) | instskip(NEXT) | instid1(VALU_DEP_2)
	v_add_nc_u64_e32 v[0:1], s[0:1], v[2:3]
	v_lshlrev_b32_e32 v2, 1, v6
	s_delay_alu instid0(VALU_DEP_1) | instskip(SKIP_4) | instid1(VALU_DEP_2)
	v_add_nc_u64_e32 v[0:1], v[0:1], v[2:3]
	s_wait_loadcnt 0x1
	v_cvt_f32_i32_e32 v5, v5
	s_wait_loadcnt 0x0
	v_cvt_f32_i32_e32 v6, v8
	v_fma_mixlo_f16 v2, v4, v5, 0
	s_delay_alu instid0(VALU_DEP_2)
	v_fma_mixlo_f16 v3, v4, v6, 0
	s_clause 0x1
	global_store_b16 v[0:1], v2, off
	global_store_b16 v[0:1], v3, off offset:16
.LBB19_8:
	s_endpgm
	.section	.rodata,"a",@progbits
	.p2align	6, 0x0
	.amdhsa_kernel _ZL22dequantize_block_nvfp4I6__halfEvPKvPT_l
		.amdhsa_group_segment_fixed_size 0
		.amdhsa_private_segment_fixed_size 0
		.amdhsa_kernarg_size 24
		.amdhsa_user_sgpr_count 2
		.amdhsa_user_sgpr_dispatch_ptr 0
		.amdhsa_user_sgpr_queue_ptr 0
		.amdhsa_user_sgpr_kernarg_segment_ptr 1
		.amdhsa_user_sgpr_dispatch_id 0
		.amdhsa_user_sgpr_kernarg_preload_length 0
		.amdhsa_user_sgpr_kernarg_preload_offset 0
		.amdhsa_user_sgpr_private_segment_size 0
		.amdhsa_wavefront_size32 1
		.amdhsa_uses_dynamic_stack 0
		.amdhsa_enable_private_segment 0
		.amdhsa_system_sgpr_workgroup_id_x 1
		.amdhsa_system_sgpr_workgroup_id_y 0
		.amdhsa_system_sgpr_workgroup_id_z 0
		.amdhsa_system_sgpr_workgroup_info 0
		.amdhsa_system_vgpr_workitem_id 0
		.amdhsa_next_free_vgpr 9
		.amdhsa_next_free_sgpr 10
		.amdhsa_named_barrier_count 0
		.amdhsa_reserve_vcc 1
		.amdhsa_float_round_mode_32 0
		.amdhsa_float_round_mode_16_64 0
		.amdhsa_float_denorm_mode_32 3
		.amdhsa_float_denorm_mode_16_64 3
		.amdhsa_fp16_overflow 0
		.amdhsa_memory_ordered 1
		.amdhsa_forward_progress 1
		.amdhsa_inst_pref_size 4
		.amdhsa_round_robin_scheduling 0
		.amdhsa_exception_fp_ieee_invalid_op 0
		.amdhsa_exception_fp_denorm_src 0
		.amdhsa_exception_fp_ieee_div_zero 0
		.amdhsa_exception_fp_ieee_overflow 0
		.amdhsa_exception_fp_ieee_underflow 0
		.amdhsa_exception_fp_ieee_inexact 0
		.amdhsa_exception_int_div_zero 0
	.end_amdhsa_kernel
	.section	.text._ZL22dequantize_block_nvfp4I6__halfEvPKvPT_l,"axG",@progbits,_ZL22dequantize_block_nvfp4I6__halfEvPKvPT_l,comdat
.Lfunc_end19:
	.size	_ZL22dequantize_block_nvfp4I6__halfEvPKvPT_l, .Lfunc_end19-_ZL22dequantize_block_nvfp4I6__halfEvPKvPT_l
                                        ; -- End function
	.set _ZL22dequantize_block_nvfp4I6__halfEvPKvPT_l.num_vgpr, 9
	.set _ZL22dequantize_block_nvfp4I6__halfEvPKvPT_l.num_agpr, 0
	.set _ZL22dequantize_block_nvfp4I6__halfEvPKvPT_l.numbered_sgpr, 10
	.set _ZL22dequantize_block_nvfp4I6__halfEvPKvPT_l.num_named_barrier, 0
	.set _ZL22dequantize_block_nvfp4I6__halfEvPKvPT_l.private_seg_size, 0
	.set _ZL22dequantize_block_nvfp4I6__halfEvPKvPT_l.uses_vcc, 1
	.set _ZL22dequantize_block_nvfp4I6__halfEvPKvPT_l.uses_flat_scratch, 0
	.set _ZL22dequantize_block_nvfp4I6__halfEvPKvPT_l.has_dyn_sized_stack, 0
	.set _ZL22dequantize_block_nvfp4I6__halfEvPKvPT_l.has_recursion, 0
	.set _ZL22dequantize_block_nvfp4I6__halfEvPKvPT_l.has_indirect_call, 0
	.section	.AMDGPU.csdata,"",@progbits
; Kernel info:
; codeLenInByte = 484
; TotalNumSgprs: 12
; NumVgprs: 9
; ScratchSize: 0
; MemoryBound: 0
; FloatMode: 240
; IeeeMode: 1
; LDSByteSize: 0 bytes/workgroup (compile time only)
; SGPRBlocks: 0
; VGPRBlocks: 0
; NumSGPRsForWavesPerEU: 12
; NumVGPRsForWavesPerEU: 9
; NamedBarCnt: 0
; Occupancy: 16
; WaveLimiterHint : 0
; COMPUTE_PGM_RSRC2:SCRATCH_EN: 0
; COMPUTE_PGM_RSRC2:USER_SGPR: 2
; COMPUTE_PGM_RSRC2:TRAP_HANDLER: 0
; COMPUTE_PGM_RSRC2:TGID_X_EN: 1
; COMPUTE_PGM_RSRC2:TGID_Y_EN: 0
; COMPUTE_PGM_RSRC2:TGID_Z_EN: 0
; COMPUTE_PGM_RSRC2:TIDIG_COMP_CNT: 0
	.section	.text._ZL21dequantize_block_q4_0IfEvPKvPT_i,"axG",@progbits,_ZL21dequantize_block_q4_0IfEvPKvPT_i,comdat
	.globl	_ZL21dequantize_block_q4_0IfEvPKvPT_i ; -- Begin function _ZL21dequantize_block_q4_0IfEvPKvPT_i
	.p2align	8
	.type	_ZL21dequantize_block_q4_0IfEvPKvPT_i,@function
_ZL21dequantize_block_q4_0IfEvPKvPT_i:  ; @_ZL21dequantize_block_q4_0IfEvPKvPT_i
; %bb.0:
	s_load_b32 s4, s[0:1], 0x10
	s_bfe_u32 s2, ttmp6, 0x4000c
	s_and_b32 s5, ttmp6, 15
	s_add_co_i32 s2, s2, 1
	s_getreg_b32 s6, hwreg(HW_REG_IB_STS2, 6, 4)
	s_mul_i32 s2, ttmp9, s2
	s_mov_b32 s3, 0
	s_add_co_i32 s2, s5, s2
	v_mov_b32_e32 v3, 0
	s_wait_kmcnt 0x0
	s_ashr_i32 s5, s4, 31
	s_cmp_eq_u32 s6, 0
	s_cselect_b32 s2, ttmp9, s2
	s_delay_alu instid0(SALU_CYCLE_1) | instskip(NEXT) | instid1(SALU_CYCLE_1)
	s_lshl_b64 s[6:7], s[2:3], 3
	v_dual_mov_b32 v5, s7 :: v_dual_bitop2_b32 v2, 7, v0 bitop3:0x40
	s_delay_alu instid0(VALU_DEP_1) | instskip(NEXT) | instid1(VALU_DEP_1)
	v_or_b32_e32 v4, s6, v2
	v_cmp_gt_i64_e32 vcc_lo, s[4:5], v[4:5]
	s_and_saveexec_b32 s4, vcc_lo
	s_cbranch_execz .LBB20_2
; %bb.1:
	s_load_b128 s[4:7], s[0:1], 0x0
	v_lshlrev_b32_e32 v2, 7, v2
	s_wait_xcnt 0x0
	s_lshl_b64 s[0:1], s[2:3], 10
	s_wait_kmcnt 0x0
	v_mad_nc_u64_u32 v[6:7], v4, 18, s[4:5]
	v_lshrrev_b32_e32 v4, 1, v0
	s_add_nc_u64 s[0:1], s[6:7], s[0:1]
	s_delay_alu instid0(SALU_CYCLE_1) | instskip(NEXT) | instid1(VALU_DEP_2)
	v_add_nc_u64_e32 v[0:1], s[0:1], v[2:3]
	v_and_b32_e32 v2, 0x1fc, v4
	s_delay_alu instid0(VALU_DEP_4) | instskip(NEXT) | instid1(VALU_DEP_1)
	v_mad_u32_u24 v7, v5, 18, v7
	v_add_nc_u64_e32 v[4:5], v[6:7], v[2:3]
	s_clause 0x1
	global_load_u16 v8, v[6:7], off
	global_load_b32 v9, v[4:5], off offset:2
	v_lshlrev_b32_e32 v2, 2, v2
	s_wait_loadcnt 0x1
	s_wait_xcnt 0x1
	v_cvt_f32_f16_e32 v6, v8
	s_wait_loadcnt 0x0
	v_lshrrev_b32_e32 v4, 8, v9
	v_lshrrev_b16 v11, 4, v9
	v_bfe_u32 v5, v9, 8, 4
	v_and_b32_e32 v10, 15, v9
	v_dual_mul_f32 v8, 0xc1000000, v6 :: v_dual_lshrrev_b32 v7, 24, v9
	v_lshrrev_b16 v14, 4, v4
	v_bfe_u32 v12, v9, 24, 4
	v_bfe_u32 v13, v9, 16, 4
	;; [unrolled: 1-line block ×3, first 2 shown]
	v_and_b32_e32 v15, 15, v11
	v_and_b32_e32 v16, 15, v14
	v_lshrrev_b16 v7, 4, v7
	v_cvt_f32_ubyte0_e32 v5, v5
	v_cvt_f32_ubyte0_e32 v4, v10
	v_cvt_f32_ubyte0_e32 v11, v12
	v_cvt_f32_ubyte0_e32 v10, v13
	v_cvt_f32_ubyte0_e32 v12, v9
	v_cvt_f32_ubyte0_e32 v14, v15
	v_cvt_f32_ubyte0_e32 v15, v16
	v_cvt_f32_ubyte0_e32 v13, v7
	v_add_nc_u64_e32 v[16:17], v[0:1], v[2:3]
	v_pk_fma_f32 v[0:1], v[6:7], v[4:5], v[8:9] op_sel_hi:[0,1,0]
	v_pk_fma_f32 v[2:3], v[6:7], v[10:11], v[8:9] op_sel_hi:[0,1,0]
	;; [unrolled: 1-line block ×4, first 2 shown]
	s_clause 0x1
	global_store_b128 v[16:17], v[0:3], off
	global_store_b128 v[16:17], v[4:7], off offset:64
.LBB20_2:
	s_endpgm
	.section	.rodata,"a",@progbits
	.p2align	6, 0x0
	.amdhsa_kernel _ZL21dequantize_block_q4_0IfEvPKvPT_i
		.amdhsa_group_segment_fixed_size 0
		.amdhsa_private_segment_fixed_size 0
		.amdhsa_kernarg_size 20
		.amdhsa_user_sgpr_count 2
		.amdhsa_user_sgpr_dispatch_ptr 0
		.amdhsa_user_sgpr_queue_ptr 0
		.amdhsa_user_sgpr_kernarg_segment_ptr 1
		.amdhsa_user_sgpr_dispatch_id 0
		.amdhsa_user_sgpr_kernarg_preload_length 0
		.amdhsa_user_sgpr_kernarg_preload_offset 0
		.amdhsa_user_sgpr_private_segment_size 0
		.amdhsa_wavefront_size32 1
		.amdhsa_uses_dynamic_stack 0
		.amdhsa_enable_private_segment 0
		.amdhsa_system_sgpr_workgroup_id_x 1
		.amdhsa_system_sgpr_workgroup_id_y 0
		.amdhsa_system_sgpr_workgroup_id_z 0
		.amdhsa_system_sgpr_workgroup_info 0
		.amdhsa_system_vgpr_workitem_id 0
		.amdhsa_next_free_vgpr 18
		.amdhsa_next_free_sgpr 8
		.amdhsa_named_barrier_count 0
		.amdhsa_reserve_vcc 1
		.amdhsa_float_round_mode_32 0
		.amdhsa_float_round_mode_16_64 0
		.amdhsa_float_denorm_mode_32 3
		.amdhsa_float_denorm_mode_16_64 3
		.amdhsa_fp16_overflow 0
		.amdhsa_memory_ordered 1
		.amdhsa_forward_progress 1
		.amdhsa_inst_pref_size 4
		.amdhsa_round_robin_scheduling 0
		.amdhsa_exception_fp_ieee_invalid_op 0
		.amdhsa_exception_fp_denorm_src 0
		.amdhsa_exception_fp_ieee_div_zero 0
		.amdhsa_exception_fp_ieee_overflow 0
		.amdhsa_exception_fp_ieee_underflow 0
		.amdhsa_exception_fp_ieee_inexact 0
		.amdhsa_exception_int_div_zero 0
	.end_amdhsa_kernel
	.section	.text._ZL21dequantize_block_q4_0IfEvPKvPT_i,"axG",@progbits,_ZL21dequantize_block_q4_0IfEvPKvPT_i,comdat
.Lfunc_end20:
	.size	_ZL21dequantize_block_q4_0IfEvPKvPT_i, .Lfunc_end20-_ZL21dequantize_block_q4_0IfEvPKvPT_i
                                        ; -- End function
	.set _ZL21dequantize_block_q4_0IfEvPKvPT_i.num_vgpr, 18
	.set _ZL21dequantize_block_q4_0IfEvPKvPT_i.num_agpr, 0
	.set _ZL21dequantize_block_q4_0IfEvPKvPT_i.numbered_sgpr, 8
	.set _ZL21dequantize_block_q4_0IfEvPKvPT_i.num_named_barrier, 0
	.set _ZL21dequantize_block_q4_0IfEvPKvPT_i.private_seg_size, 0
	.set _ZL21dequantize_block_q4_0IfEvPKvPT_i.uses_vcc, 1
	.set _ZL21dequantize_block_q4_0IfEvPKvPT_i.uses_flat_scratch, 0
	.set _ZL21dequantize_block_q4_0IfEvPKvPT_i.has_dyn_sized_stack, 0
	.set _ZL21dequantize_block_q4_0IfEvPKvPT_i.has_recursion, 0
	.set _ZL21dequantize_block_q4_0IfEvPKvPT_i.has_indirect_call, 0
	.section	.AMDGPU.csdata,"",@progbits
; Kernel info:
; codeLenInByte = 404
; TotalNumSgprs: 10
; NumVgprs: 18
; ScratchSize: 0
; MemoryBound: 0
; FloatMode: 240
; IeeeMode: 1
; LDSByteSize: 0 bytes/workgroup (compile time only)
; SGPRBlocks: 0
; VGPRBlocks: 1
; NumSGPRsForWavesPerEU: 10
; NumVGPRsForWavesPerEU: 18
; NamedBarCnt: 0
; Occupancy: 16
; WaveLimiterHint : 0
; COMPUTE_PGM_RSRC2:SCRATCH_EN: 0
; COMPUTE_PGM_RSRC2:USER_SGPR: 2
; COMPUTE_PGM_RSRC2:TRAP_HANDLER: 0
; COMPUTE_PGM_RSRC2:TGID_X_EN: 1
; COMPUTE_PGM_RSRC2:TGID_Y_EN: 0
; COMPUTE_PGM_RSRC2:TGID_Z_EN: 0
; COMPUTE_PGM_RSRC2:TIDIG_COMP_CNT: 0
	.section	.text._ZL21dequantize_block_q4_1IfEvPKvPT_i,"axG",@progbits,_ZL21dequantize_block_q4_1IfEvPKvPT_i,comdat
	.globl	_ZL21dequantize_block_q4_1IfEvPKvPT_i ; -- Begin function _ZL21dequantize_block_q4_1IfEvPKvPT_i
	.p2align	8
	.type	_ZL21dequantize_block_q4_1IfEvPKvPT_i,@function
_ZL21dequantize_block_q4_1IfEvPKvPT_i:  ; @_ZL21dequantize_block_q4_1IfEvPKvPT_i
; %bb.0:
	s_load_b32 s4, s[0:1], 0x10
	s_bfe_u32 s2, ttmp6, 0x4000c
	s_and_b32 s5, ttmp6, 15
	s_add_co_i32 s2, s2, 1
	s_getreg_b32 s6, hwreg(HW_REG_IB_STS2, 6, 4)
	s_mul_i32 s2, ttmp9, s2
	s_mov_b32 s3, 0
	s_add_co_i32 s2, s5, s2
	v_mov_b32_e32 v3, 0
	s_wait_kmcnt 0x0
	s_ashr_i32 s5, s4, 31
	s_cmp_eq_u32 s6, 0
	s_cselect_b32 s2, ttmp9, s2
	s_delay_alu instid0(SALU_CYCLE_1) | instskip(NEXT) | instid1(SALU_CYCLE_1)
	s_lshl_b64 s[6:7], s[2:3], 3
	v_dual_mov_b32 v5, s7 :: v_dual_bitop2_b32 v2, 7, v0 bitop3:0x40
	s_delay_alu instid0(VALU_DEP_1) | instskip(NEXT) | instid1(VALU_DEP_1)
	v_or_b32_e32 v4, s6, v2
	v_cmp_gt_i64_e32 vcc_lo, s[4:5], v[4:5]
	s_and_saveexec_b32 s4, vcc_lo
	s_cbranch_execz .LBB21_2
; %bb.1:
	s_load_b128 s[4:7], s[0:1], 0x0
	v_lshlrev_b32_e32 v2, 7, v2
	s_wait_xcnt 0x0
	s_lshl_b64 s[0:1], s[2:3], 10
	s_wait_kmcnt 0x0
	v_mad_nc_u64_u32 v[6:7], v4, 20, s[4:5]
	v_lshrrev_b32_e32 v4, 1, v0
	s_add_nc_u64 s[0:1], s[6:7], s[0:1]
	s_delay_alu instid0(SALU_CYCLE_1) | instskip(NEXT) | instid1(VALU_DEP_2)
	v_add_nc_u64_e32 v[0:1], s[0:1], v[2:3]
	v_and_b32_e32 v2, 0x1fc, v4
	s_delay_alu instid0(VALU_DEP_4) | instskip(NEXT) | instid1(VALU_DEP_1)
	v_mad_u32_u24 v7, v5, 20, v7
	v_add_nc_u64_e32 v[4:5], v[6:7], v[2:3]
	s_clause 0x1
	global_load_b32 v8, v[6:7], off
	global_load_b32 v9, v[4:5], off offset:4
	s_wait_loadcnt 0x1
	s_wait_xcnt 0x0
	v_dual_lshlrev_b32 v2, 2, v2 :: v_dual_lshrrev_b32 v4, 16, v8
	v_cvt_f32_f16_e32 v6, v8
	s_wait_loadcnt 0x0
	v_lshrrev_b16 v11, 4, v9
	v_bfe_u32 v5, v9, 8, 4
	v_and_b32_e32 v10, 15, v9
	v_cvt_f32_f16_e32 v8, v4
	v_dual_lshrrev_b32 v4, 8, v9 :: v_dual_lshrrev_b32 v7, 24, v9
	v_bfe_u32 v12, v9, 24, 4
	v_bfe_u32 v13, v9, 16, 4
	;; [unrolled: 1-line block ×3, first 2 shown]
	s_delay_alu instid0(VALU_DEP_4)
	v_lshrrev_b16 v14, 4, v4
	v_and_b32_e32 v15, 15, v11
	v_lshrrev_b16 v7, 4, v7
	v_cvt_f32_ubyte0_e32 v5, v5
	v_cvt_f32_ubyte0_e32 v4, v10
	v_and_b32_e32 v16, 15, v14
	v_cvt_f32_ubyte0_e32 v11, v12
	v_cvt_f32_ubyte0_e32 v10, v13
	;; [unrolled: 1-line block ×6, first 2 shown]
	v_add_nc_u64_e32 v[16:17], v[0:1], v[2:3]
	v_pk_fma_f32 v[0:1], v[6:7], v[4:5], v[8:9] op_sel_hi:[0,1,0]
	v_pk_fma_f32 v[2:3], v[6:7], v[10:11], v[8:9] op_sel_hi:[0,1,0]
	;; [unrolled: 1-line block ×4, first 2 shown]
	s_clause 0x1
	global_store_b128 v[16:17], v[0:3], off
	global_store_b128 v[16:17], v[4:7], off offset:64
.LBB21_2:
	s_endpgm
	.section	.rodata,"a",@progbits
	.p2align	6, 0x0
	.amdhsa_kernel _ZL21dequantize_block_q4_1IfEvPKvPT_i
		.amdhsa_group_segment_fixed_size 0
		.amdhsa_private_segment_fixed_size 0
		.amdhsa_kernarg_size 20
		.amdhsa_user_sgpr_count 2
		.amdhsa_user_sgpr_dispatch_ptr 0
		.amdhsa_user_sgpr_queue_ptr 0
		.amdhsa_user_sgpr_kernarg_segment_ptr 1
		.amdhsa_user_sgpr_dispatch_id 0
		.amdhsa_user_sgpr_kernarg_preload_length 0
		.amdhsa_user_sgpr_kernarg_preload_offset 0
		.amdhsa_user_sgpr_private_segment_size 0
		.amdhsa_wavefront_size32 1
		.amdhsa_uses_dynamic_stack 0
		.amdhsa_enable_private_segment 0
		.amdhsa_system_sgpr_workgroup_id_x 1
		.amdhsa_system_sgpr_workgroup_id_y 0
		.amdhsa_system_sgpr_workgroup_id_z 0
		.amdhsa_system_sgpr_workgroup_info 0
		.amdhsa_system_vgpr_workitem_id 0
		.amdhsa_next_free_vgpr 18
		.amdhsa_next_free_sgpr 8
		.amdhsa_named_barrier_count 0
		.amdhsa_reserve_vcc 1
		.amdhsa_float_round_mode_32 0
		.amdhsa_float_round_mode_16_64 0
		.amdhsa_float_denorm_mode_32 3
		.amdhsa_float_denorm_mode_16_64 3
		.amdhsa_fp16_overflow 0
		.amdhsa_memory_ordered 1
		.amdhsa_forward_progress 1
		.amdhsa_inst_pref_size 4
		.amdhsa_round_robin_scheduling 0
		.amdhsa_exception_fp_ieee_invalid_op 0
		.amdhsa_exception_fp_denorm_src 0
		.amdhsa_exception_fp_ieee_div_zero 0
		.amdhsa_exception_fp_ieee_overflow 0
		.amdhsa_exception_fp_ieee_underflow 0
		.amdhsa_exception_fp_ieee_inexact 0
		.amdhsa_exception_int_div_zero 0
	.end_amdhsa_kernel
	.section	.text._ZL21dequantize_block_q4_1IfEvPKvPT_i,"axG",@progbits,_ZL21dequantize_block_q4_1IfEvPKvPT_i,comdat
.Lfunc_end21:
	.size	_ZL21dequantize_block_q4_1IfEvPKvPT_i, .Lfunc_end21-_ZL21dequantize_block_q4_1IfEvPKvPT_i
                                        ; -- End function
	.set _ZL21dequantize_block_q4_1IfEvPKvPT_i.num_vgpr, 18
	.set _ZL21dequantize_block_q4_1IfEvPKvPT_i.num_agpr, 0
	.set _ZL21dequantize_block_q4_1IfEvPKvPT_i.numbered_sgpr, 8
	.set _ZL21dequantize_block_q4_1IfEvPKvPT_i.num_named_barrier, 0
	.set _ZL21dequantize_block_q4_1IfEvPKvPT_i.private_seg_size, 0
	.set _ZL21dequantize_block_q4_1IfEvPKvPT_i.uses_vcc, 1
	.set _ZL21dequantize_block_q4_1IfEvPKvPT_i.uses_flat_scratch, 0
	.set _ZL21dequantize_block_q4_1IfEvPKvPT_i.has_dyn_sized_stack, 0
	.set _ZL21dequantize_block_q4_1IfEvPKvPT_i.has_recursion, 0
	.set _ZL21dequantize_block_q4_1IfEvPKvPT_i.has_indirect_call, 0
	.section	.AMDGPU.csdata,"",@progbits
; Kernel info:
; codeLenInByte = 416
; TotalNumSgprs: 10
; NumVgprs: 18
; ScratchSize: 0
; MemoryBound: 0
; FloatMode: 240
; IeeeMode: 1
; LDSByteSize: 0 bytes/workgroup (compile time only)
; SGPRBlocks: 0
; VGPRBlocks: 1
; NumSGPRsForWavesPerEU: 10
; NumVGPRsForWavesPerEU: 18
; NamedBarCnt: 0
; Occupancy: 16
; WaveLimiterHint : 0
; COMPUTE_PGM_RSRC2:SCRATCH_EN: 0
; COMPUTE_PGM_RSRC2:USER_SGPR: 2
; COMPUTE_PGM_RSRC2:TRAP_HANDLER: 0
; COMPUTE_PGM_RSRC2:TGID_X_EN: 1
; COMPUTE_PGM_RSRC2:TGID_Y_EN: 0
; COMPUTE_PGM_RSRC2:TGID_Z_EN: 0
; COMPUTE_PGM_RSRC2:TIDIG_COMP_CNT: 0
	.section	.text._ZL21dequantize_block_q2_KIfEvPKvPT_,"axG",@progbits,_ZL21dequantize_block_q2_KIfEvPKvPT_,comdat
	.globl	_ZL21dequantize_block_q2_KIfEvPKvPT_ ; -- Begin function _ZL21dequantize_block_q2_KIfEvPKvPT_
	.p2align	8
	.type	_ZL21dequantize_block_q2_KIfEvPKvPT_,@function
_ZL21dequantize_block_q2_KIfEvPKvPT_:   ; @_ZL21dequantize_block_q2_KIfEvPKvPT_
; %bb.0:
	s_load_b128 s[0:3], s[0:1], 0x0
	s_bfe_u32 s4, ttmp6, 0x4000c
	s_and_b32 s6, ttmp6, 15
	s_add_co_i32 s4, s4, 1
	s_getreg_b32 s7, hwreg(HW_REG_IB_STS2, 6, 4)
	s_mul_i32 s4, ttmp9, s4
	v_dual_mov_b32 v3, 0 :: v_dual_lshrrev_b32 v8, 5, v0
	s_add_co_i32 s6, s6, s4
	s_cmp_eq_u32 s7, 0
	s_mov_b32 s5, 0
	s_cselect_b32 s4, ttmp9, s6
	v_dual_mov_b32 v7, v3 :: v_dual_lshlrev_b32 v2, 3, v8
	s_mul_u64 s[6:7], s[4:5], 0x54
	v_bfe_u32 v6, v0, 4, 1
	v_mov_b32_e32 v1, v3
	s_wait_kmcnt 0x0
	s_add_nc_u64 s[0:1], s[0:1], s[6:7]
	s_delay_alu instid0(SALU_CYCLE_1) | instskip(SKIP_3) | instid1(VALU_DEP_1)
	v_add_nc_u64_e32 v[4:5], s[0:1], v[2:3]
	global_load_u8 v9, v0, s[0:1] offset:16
	v_and_b32_e32 v2, 31, v0
	s_wait_xcnt 0x0
	v_dual_lshlrev_b32 v0, 9, v8 :: v_dual_lshlrev_b32 v2, 2, v2
	v_add_nc_u64_e32 v[4:5], v[4:5], v[6:7]
	s_clause 0x3
	global_load_u8 v6, v[4:5], off
	global_load_u8 v7, v[4:5], off offset:2
	global_load_u8 v10, v[4:5], off offset:4
	;; [unrolled: 1-line block ×3, first 2 shown]
	s_load_b32 s6, s[0:1], 0x50
	s_wait_xcnt 0x0
	s_lshl_b64 s[0:1], s[4:5], 10
	s_delay_alu instid0(SALU_CYCLE_1) | instskip(NEXT) | instid1(SALU_CYCLE_1)
	s_add_nc_u64 s[0:1], s[2:3], s[0:1]
	v_add_nc_u64_e32 v[0:1], s[0:1], v[0:1]
	s_delay_alu instid0(VALU_DEP_1)
	v_add_nc_u64_e32 v[0:1], v[0:1], v[2:3]
	s_wait_kmcnt 0x0
	s_cvt_f32_f16 s0, s6
	s_cvt_hi_f32_f16 s1, s6
	s_wait_loadcnt 0x4
	v_and_b32_e32 v4, 3, v9
	v_bfe_u32 v5, v9, 2, 2
	v_bfe_u32 v8, v9, 4, 2
	v_lshrrev_b32_e32 v9, 6, v9
	s_delay_alu instid0(VALU_DEP_4) | instskip(NEXT) | instid1(VALU_DEP_4)
	v_cvt_f32_ubyte0_e32 v4, v4
	v_cvt_f32_ubyte0_e32 v5, v5
	s_delay_alu instid0(VALU_DEP_4) | instskip(NEXT) | instid1(VALU_DEP_4)
	v_cvt_f32_ubyte0_e32 v8, v8
	v_cvt_f32_ubyte0_e32 v9, v9
	s_wait_loadcnt 0x3
	v_dual_lshrrev_b32 v6, 4, v6 :: v_dual_bitop2_b32 v12, 15, v6 bitop3:0x40
	s_wait_loadcnt 0x2
	v_dual_lshrrev_b32 v7, 4, v7 :: v_dual_bitop2_b32 v13, 15, v7 bitop3:0x40
	;; [unrolled: 2-line block ×4, first 2 shown]
	v_cvt_f32_ubyte0_e32 v12, v12
	v_cvt_f32_ubyte0_e32 v6, v6
	;; [unrolled: 1-line block ×8, first 2 shown]
	v_dual_mul_f32 v12, s0, v12 :: v_dual_mul_f32 v6, s1, v6
	v_dual_mul_f32 v13, s0, v13 :: v_dual_mul_f32 v7, s1, v7
	s_delay_alu instid0(VALU_DEP_4) | instskip(NEXT) | instid1(VALU_DEP_4)
	v_dual_mul_f32 v14, s0, v14 :: v_dual_mul_f32 v15, s0, v15
	v_dual_mul_f32 v10, s1, v10 :: v_dual_mul_f32 v11, s1, v11
	s_delay_alu instid0(VALU_DEP_3) | instskip(NEXT) | instid1(VALU_DEP_2)
	v_dual_fma_f32 v2, v12, v4, -v6 :: v_dual_fma_f32 v3, v13, v5, -v7
	v_dual_fma_f32 v4, v14, v8, -v10 :: v_dual_fma_f32 v5, v15, v9, -v11
	s_clause 0x3
	global_store_b32 v[0:1], v2, off
	global_store_b32 v[0:1], v3, off offset:128
	global_store_b32 v[0:1], v4, off offset:256
	global_store_b32 v[0:1], v5, off offset:384
	s_endpgm
	.section	.rodata,"a",@progbits
	.p2align	6, 0x0
	.amdhsa_kernel _ZL21dequantize_block_q2_KIfEvPKvPT_
		.amdhsa_group_segment_fixed_size 0
		.amdhsa_private_segment_fixed_size 0
		.amdhsa_kernarg_size 16
		.amdhsa_user_sgpr_count 2
		.amdhsa_user_sgpr_dispatch_ptr 0
		.amdhsa_user_sgpr_queue_ptr 0
		.amdhsa_user_sgpr_kernarg_segment_ptr 1
		.amdhsa_user_sgpr_dispatch_id 0
		.amdhsa_user_sgpr_kernarg_preload_length 0
		.amdhsa_user_sgpr_kernarg_preload_offset 0
		.amdhsa_user_sgpr_private_segment_size 0
		.amdhsa_wavefront_size32 1
		.amdhsa_uses_dynamic_stack 0
		.amdhsa_enable_private_segment 0
		.amdhsa_system_sgpr_workgroup_id_x 1
		.amdhsa_system_sgpr_workgroup_id_y 0
		.amdhsa_system_sgpr_workgroup_id_z 0
		.amdhsa_system_sgpr_workgroup_info 0
		.amdhsa_system_vgpr_workitem_id 0
		.amdhsa_next_free_vgpr 16
		.amdhsa_next_free_sgpr 8
		.amdhsa_named_barrier_count 0
		.amdhsa_reserve_vcc 0
		.amdhsa_float_round_mode_32 0
		.amdhsa_float_round_mode_16_64 0
		.amdhsa_float_denorm_mode_32 3
		.amdhsa_float_denorm_mode_16_64 3
		.amdhsa_fp16_overflow 0
		.amdhsa_memory_ordered 1
		.amdhsa_forward_progress 1
		.amdhsa_inst_pref_size 4
		.amdhsa_round_robin_scheduling 0
		.amdhsa_exception_fp_ieee_invalid_op 0
		.amdhsa_exception_fp_denorm_src 0
		.amdhsa_exception_fp_ieee_div_zero 0
		.amdhsa_exception_fp_ieee_overflow 0
		.amdhsa_exception_fp_ieee_underflow 0
		.amdhsa_exception_fp_ieee_inexact 0
		.amdhsa_exception_int_div_zero 0
	.end_amdhsa_kernel
	.section	.text._ZL21dequantize_block_q2_KIfEvPKvPT_,"axG",@progbits,_ZL21dequantize_block_q2_KIfEvPKvPT_,comdat
.Lfunc_end22:
	.size	_ZL21dequantize_block_q2_KIfEvPKvPT_, .Lfunc_end22-_ZL21dequantize_block_q2_KIfEvPKvPT_
                                        ; -- End function
	.set _ZL21dequantize_block_q2_KIfEvPKvPT_.num_vgpr, 16
	.set _ZL21dequantize_block_q2_KIfEvPKvPT_.num_agpr, 0
	.set _ZL21dequantize_block_q2_KIfEvPKvPT_.numbered_sgpr, 8
	.set _ZL21dequantize_block_q2_KIfEvPKvPT_.num_named_barrier, 0
	.set _ZL21dequantize_block_q2_KIfEvPKvPT_.private_seg_size, 0
	.set _ZL21dequantize_block_q2_KIfEvPKvPT_.uses_vcc, 0
	.set _ZL21dequantize_block_q2_KIfEvPKvPT_.uses_flat_scratch, 0
	.set _ZL21dequantize_block_q2_KIfEvPKvPT_.has_dyn_sized_stack, 0
	.set _ZL21dequantize_block_q2_KIfEvPKvPT_.has_recursion, 0
	.set _ZL21dequantize_block_q2_KIfEvPKvPT_.has_indirect_call, 0
	.section	.AMDGPU.csdata,"",@progbits
; Kernel info:
; codeLenInByte = 512
; TotalNumSgprs: 8
; NumVgprs: 16
; ScratchSize: 0
; MemoryBound: 0
; FloatMode: 240
; IeeeMode: 1
; LDSByteSize: 0 bytes/workgroup (compile time only)
; SGPRBlocks: 0
; VGPRBlocks: 0
; NumSGPRsForWavesPerEU: 8
; NumVGPRsForWavesPerEU: 16
; NamedBarCnt: 0
; Occupancy: 16
; WaveLimiterHint : 0
; COMPUTE_PGM_RSRC2:SCRATCH_EN: 0
; COMPUTE_PGM_RSRC2:USER_SGPR: 2
; COMPUTE_PGM_RSRC2:TRAP_HANDLER: 0
; COMPUTE_PGM_RSRC2:TGID_X_EN: 1
; COMPUTE_PGM_RSRC2:TGID_Y_EN: 0
; COMPUTE_PGM_RSRC2:TGID_Z_EN: 0
; COMPUTE_PGM_RSRC2:TIDIG_COMP_CNT: 0
	.section	.text._ZL21dequantize_block_q3_KIfEvPKvPT_,"axG",@progbits,_ZL21dequantize_block_q3_KIfEvPKvPT_,comdat
	.globl	_ZL21dequantize_block_q3_KIfEvPKvPT_ ; -- Begin function _ZL21dequantize_block_q3_KIfEvPKvPT_
	.p2align	8
	.type	_ZL21dequantize_block_q3_KIfEvPKvPT_,@function
_ZL21dequantize_block_q3_KIfEvPKvPT_:   ; @_ZL21dequantize_block_q3_KIfEvPKvPT_
; %bb.0:
	v_dual_mov_b32 v5, 0 :: v_dual_lshrrev_b32 v14, 5, v0
	v_lshrrev_b32_e32 v4, 3, v0
	s_load_b64 s[2:3], s[0:1], 0x0
	s_bfe_u32 s4, ttmp6, 0x4000c
	s_delay_alu instid0(VALU_DEP_2) | instskip(SKIP_3) | instid1(VALU_DEP_2)
	v_dual_mov_b32 v3, v5 :: v_dual_lshlrev_b32 v2, 2, v14
	v_dual_lshrrev_b32 v1, 2, v0 :: v_dual_mov_b32 v9, v5
	s_add_co_i32 s4, s4, 1
	s_and_b32 s5, ttmp6, 15
	v_sub_nc_u64_e32 v[6:7], v[4:5], v[2:3]
	s_delay_alu instid0(VALU_DEP_2) | instskip(SKIP_4) | instid1(VALU_DEP_2)
	v_and_b32_e32 v8, 0xf8, v1
	s_mul_i32 s4, ttmp9, s4
	s_mov_b32 s8, exec_lo
	s_add_co_i32 s4, s5, s4
	s_getreg_b32 s5, hwreg(HW_REG_IB_STS2, 6, 4)
                                        ; implicit-def: $vgpr5
	v_lshlrev_b64_e32 v[2:3], 1, v[6:7]
	s_cmp_eq_u32 s5, 0
	s_mov_b32 s5, 0
	s_cselect_b32 s4, ttmp9, s4
	s_delay_alu instid0(SALU_CYCLE_1) | instskip(NEXT) | instid1(VALU_DEP_1)
	s_mul_u64 s[6:7], s[4:5], 0x6e
	v_add_nc_u64_e32 v[12:13], v[2:3], v[8:9]
	v_bfe_u32 v8, v0, 2, 1
                                        ; implicit-def: $vgpr3
	s_delay_alu instid0(VALU_DEP_1) | instskip(NEXT) | instid1(VALU_DEP_1)
	v_dual_mov_b32 v11, v13 :: v_dual_bitop2_b32 v10, v12, v8 bitop3:0x54
	v_cmpx_lt_i64_e32 3, v[10:11]
	s_xor_b32 s8, exec_lo, s8
	s_cbranch_execz .LBB23_10
; %bb.1:
	s_mov_b32 s9, exec_lo
                                        ; implicit-def: $vgpr5
                                        ; implicit-def: $vgpr3
	v_cmpx_lt_u64_e32 7, v[12:13]
	s_xor_b32 s9, exec_lo, s9
	s_cbranch_execz .LBB23_7
; %bb.2:
	s_wait_kmcnt 0x0
	s_add_nc_u64 s[10:11], s[2:3], s[6:7]
                                        ; implicit-def: $vgpr3
	s_delay_alu instid0(SALU_CYCLE_1)
	v_add_nc_u64_e32 v[10:11], s[10:11], v[10:11]
	s_mov_b32 s10, exec_lo
	global_load_u8 v1, v[10:11], off offset:88
	s_wait_xcnt 0x0
	v_cmpx_lt_u64_e32 11, v[12:13]
	s_xor_b32 s10, exec_lo, s10
	s_cbranch_execz .LBB23_4
; %bb.3:
	global_load_u8 v3, v[10:11], off offset:92
                                        ; implicit-def: $vgpr10_vgpr11
	s_wait_loadcnt 0x0
	v_lshrrev_b16 v3, 2, v3
.LBB23_4:
	s_and_not1_saveexec_b32 s10, s10
	s_cbranch_execz .LBB23_6
; %bb.5:
	global_load_u8 v3, v[10:11], off offset:96
.LBB23_6:
	s_wait_xcnt 0x0
	s_or_b32 exec_lo, exec_lo, s10
	s_wait_loadcnt 0x0
	v_lshrrev_b16 v5, 4, v1
                                        ; implicit-def: $vgpr10_vgpr11
.LBB23_7:
	s_and_not1_saveexec_b32 s9, s9
	s_cbranch_execz .LBB23_9
; %bb.8:
	s_wait_kmcnt 0x0
	s_add_nc_u64 s[10:11], s[2:3], s[6:7]
	s_delay_alu instid0(SALU_CYCLE_1)
	v_add_nc_u64_e32 v[10:11], s[10:11], v[10:11]
	s_clause 0x1
	global_load_u8 v1, v[10:11], off offset:96
	global_load_u8 v3, v[10:11], off offset:100
	s_wait_loadcnt 0x1
	v_and_b32_e32 v5, 15, v1
	s_wait_loadcnt 0x0
	v_lshlrev_b16 v3, 2, v3
.LBB23_9:
	s_or_b32 exec_lo, exec_lo, s9
                                        ; implicit-def: $vgpr10_vgpr11
.LBB23_10:
	s_or_saveexec_b32 s10, s8
	s_load_b64 s[8:9], s[0:1], 0x8
	s_xor_b32 exec_lo, exec_lo, s10
	s_cbranch_execz .LBB23_12
; %bb.11:
	s_wait_kmcnt 0x0
	s_add_nc_u64 s[0:1], s[2:3], s[6:7]
	s_delay_alu instid0(SALU_CYCLE_1)
	v_add_nc_u64_e32 v[10:11], s[0:1], v[10:11]
	s_clause 0x1
	global_load_u8 v1, v[10:11], off offset:96
	global_load_u8 v3, v[10:11], off offset:104
	s_wait_loadcnt 0x1
	v_and_b32_e32 v5, 15, v1
	s_wait_loadcnt 0x0
	v_lshlrev_b16 v3, 4, v3
.LBB23_12:
	s_or_b32 exec_lo, exec_lo, s10
	v_dual_mov_b32 v1, 0 :: v_dual_lshlrev_b32 v0, 2, v0
	v_lshlrev_b32_e32 v10, 5, v14
	s_wait_kmcnt 0x0
	s_add_nc_u64 s[0:1], s[2:3], s[6:7]
	v_bitop3_b16 v3, v3, v5, 48 bitop3:0xec
	v_dual_mov_b32 v11, v1 :: v_dual_bitop2_b32 v0, 12, v0 bitop3:0x40
	s_lshl_b64 s[2:3], s[4:5], 10
	v_lshlrev_b64_e32 v[6:7], 7, v[6:7]
	s_delay_alu instid0(VALU_DEP_3) | instskip(NEXT) | instid1(VALU_DEP_3)
	v_and_b32_e32 v3, 0xff, v3
	v_add_nc_u64_e32 v[10:11], s[0:1], v[10:11]
	v_lshl_or_b32 v0, v8, 4, v0
	s_add_nc_u64 s[2:3], s[8:9], s[2:3]
	s_delay_alu instid0(VALU_DEP_3) | instskip(NEXT) | instid1(VALU_DEP_2)
	v_subrev_nc_u32_e32 v3, 32, v3
	v_add_nc_u64_e32 v[8:9], v[10:11], v[0:1]
	v_lshlrev_b32_e64 v10, v4, 1
	v_lshlrev_b32_e32 v4, 9, v14
	s_delay_alu instid0(VALU_DEP_4)
	v_cvt_f32_i32_e32 v3, v3
	s_clause 0x2
	global_load_u8 v11, v0, s[0:1]
	global_load_u16 v12, v1, s[0:1] offset:108
	global_load_u8 v13, v[8:9], off offset:32
	s_wait_loadcnt 0x2
	v_dual_mov_b32 v5, v1 :: v_dual_bitop2_b32 v11, v10, v11 bitop3:0x40
	s_delay_alu instid0(VALU_DEP_1)
	v_add_nc_u64_e32 v[4:5], s[2:3], v[4:5]
	s_wait_loadcnt 0x1
	v_cvt_f32_f16_e32 v12, v12
	s_wait_loadcnt 0x0
	v_lshrrev_b32_e32 v13, v2, v13
	s_mov_b32 s2, exec_lo
	v_cmp_eq_u32_e32 vcc_lo, 0, v11
	v_mul_f32_e32 v3, v12, v3
	v_add_nc_u64_e32 v[4:5], v[4:5], v[6:7]
	v_dual_mov_b32 v7, v1 :: v_dual_lshlrev_b32 v6, 2, v0
	v_cndmask_b32_e64 v11, 0, -4, vcc_lo
	v_add_nc_u32_e32 v12, 4, v0
	s_delay_alu instid0(VALU_DEP_3) | instskip(NEXT) | instid1(VALU_DEP_3)
	v_add_nc_u64_e32 v[4:5], v[4:5], v[6:7]
	v_and_or_b32 v11, v13, 3, v11
	v_or_b32_e32 v13, 1, v0
	s_delay_alu instid0(VALU_DEP_2) | instskip(NEXT) | instid1(VALU_DEP_1)
	v_cvt_f32_i32_e32 v11, v11
	v_mul_f32_e32 v6, v3, v11
	global_store_b32 v[4:5], v6, off
	s_wait_xcnt 0x0
	v_cmpx_gt_u32_e64 v12, v13
	s_cbranch_execz .LBB23_14
; %bb.13:
	v_add_nc_u64_e32 v[6:7], s[0:1], v[0:1]
	s_clause 0x3
	global_load_u16 v1, v[6:7], off offset:2
	global_load_u16 v11, v[8:9], off offset:34
	global_load_u8 v12, v0, s[0:1] offset:1
	global_load_u8 v13, v[8:9], off offset:33
	s_wait_loadcnt 0x3
	s_wait_xcnt 0x1
	v_lshrrev_b16 v0, 8, v1
	v_bitop3_b32 v1, v1, 0xff, v10 bitop3:0x80
	s_wait_loadcnt 0x2
	v_lshrrev_b16 v6, 8, v11
	v_and_b32_e32 v7, 0xff, v11
	v_and_b32_e32 v0, 0xffff, v0
	v_cmp_eq_u32_e32 vcc_lo, 0, v1
	s_delay_alu instid0(VALU_DEP_4) | instskip(NEXT) | instid1(VALU_DEP_4)
	v_and_b32_e32 v6, 0xffff, v6
	v_lshrrev_b32_e32 v7, v2, v7
	s_delay_alu instid0(VALU_DEP_4) | instskip(SKIP_1) | instid1(VALU_DEP_4)
	v_and_b32_e32 v0, v10, v0
	v_cndmask_b32_e64 v1, 0, -4, vcc_lo
	v_lshrrev_b32_e32 v6, v2, v6
	s_delay_alu instid0(VALU_DEP_3) | instskip(NEXT) | instid1(VALU_DEP_3)
	v_cmp_eq_u32_e32 vcc_lo, 0, v0
	v_and_or_b32 v1, v7, 3, v1
	v_cndmask_b32_e64 v0, 0, -4, vcc_lo
	s_delay_alu instid0(VALU_DEP_2)
	v_cvt_f32_i32_e32 v1, v1
	s_wait_loadcnt 0x1
	s_wait_xcnt 0x0
	v_and_b32_e32 v8, v10, v12
	v_and_or_b32 v0, v6, 3, v0
	v_mul_f32_e32 v6, v3, v1
	s_delay_alu instid0(VALU_DEP_3) | instskip(NEXT) | instid1(VALU_DEP_3)
	v_cmp_eq_u32_e32 vcc_lo, 0, v8
	v_cvt_f32_i32_e32 v0, v0
	s_wait_loadcnt 0x0
	v_lshrrev_b32_e32 v2, v2, v13
	v_cndmask_b32_e64 v8, 0, -4, vcc_lo
	s_delay_alu instid0(VALU_DEP_3) | instskip(NEXT) | instid1(VALU_DEP_2)
	v_mul_f32_e32 v7, v3, v0
	v_and_or_b32 v2, v2, 3, v8
	s_delay_alu instid0(VALU_DEP_1) | instskip(NEXT) | instid1(VALU_DEP_1)
	v_cvt_f32_i32_e32 v2, v2
	v_dual_mul_f32 v0, v3, v2 :: v_dual_mov_b32 v1, v6
	s_delay_alu instid0(VALU_DEP_4)
	v_mov_b32_e32 v2, v7
	global_store_b96 v[4:5], v[0:2], off offset:4
.LBB23_14:
	s_endpgm
	.section	.rodata,"a",@progbits
	.p2align	6, 0x0
	.amdhsa_kernel _ZL21dequantize_block_q3_KIfEvPKvPT_
		.amdhsa_group_segment_fixed_size 0
		.amdhsa_private_segment_fixed_size 0
		.amdhsa_kernarg_size 16
		.amdhsa_user_sgpr_count 2
		.amdhsa_user_sgpr_dispatch_ptr 0
		.amdhsa_user_sgpr_queue_ptr 0
		.amdhsa_user_sgpr_kernarg_segment_ptr 1
		.amdhsa_user_sgpr_dispatch_id 0
		.amdhsa_user_sgpr_kernarg_preload_length 0
		.amdhsa_user_sgpr_kernarg_preload_offset 0
		.amdhsa_user_sgpr_private_segment_size 0
		.amdhsa_wavefront_size32 1
		.amdhsa_uses_dynamic_stack 0
		.amdhsa_enable_private_segment 0
		.amdhsa_system_sgpr_workgroup_id_x 1
		.amdhsa_system_sgpr_workgroup_id_y 0
		.amdhsa_system_sgpr_workgroup_id_z 0
		.amdhsa_system_sgpr_workgroup_info 0
		.amdhsa_system_vgpr_workitem_id 0
		.amdhsa_next_free_vgpr 15
		.amdhsa_next_free_sgpr 12
		.amdhsa_named_barrier_count 0
		.amdhsa_reserve_vcc 1
		.amdhsa_float_round_mode_32 0
		.amdhsa_float_round_mode_16_64 0
		.amdhsa_float_denorm_mode_32 3
		.amdhsa_float_denorm_mode_16_64 3
		.amdhsa_fp16_overflow 0
		.amdhsa_memory_ordered 1
		.amdhsa_forward_progress 1
		.amdhsa_inst_pref_size 9
		.amdhsa_round_robin_scheduling 0
		.amdhsa_exception_fp_ieee_invalid_op 0
		.amdhsa_exception_fp_denorm_src 0
		.amdhsa_exception_fp_ieee_div_zero 0
		.amdhsa_exception_fp_ieee_overflow 0
		.amdhsa_exception_fp_ieee_underflow 0
		.amdhsa_exception_fp_ieee_inexact 0
		.amdhsa_exception_int_div_zero 0
	.end_amdhsa_kernel
	.section	.text._ZL21dequantize_block_q3_KIfEvPKvPT_,"axG",@progbits,_ZL21dequantize_block_q3_KIfEvPKvPT_,comdat
.Lfunc_end23:
	.size	_ZL21dequantize_block_q3_KIfEvPKvPT_, .Lfunc_end23-_ZL21dequantize_block_q3_KIfEvPKvPT_
                                        ; -- End function
	.set _ZL21dequantize_block_q3_KIfEvPKvPT_.num_vgpr, 15
	.set _ZL21dequantize_block_q3_KIfEvPKvPT_.num_agpr, 0
	.set _ZL21dequantize_block_q3_KIfEvPKvPT_.numbered_sgpr, 12
	.set _ZL21dequantize_block_q3_KIfEvPKvPT_.num_named_barrier, 0
	.set _ZL21dequantize_block_q3_KIfEvPKvPT_.private_seg_size, 0
	.set _ZL21dequantize_block_q3_KIfEvPKvPT_.uses_vcc, 1
	.set _ZL21dequantize_block_q3_KIfEvPKvPT_.uses_flat_scratch, 0
	.set _ZL21dequantize_block_q3_KIfEvPKvPT_.has_dyn_sized_stack, 0
	.set _ZL21dequantize_block_q3_KIfEvPKvPT_.has_recursion, 0
	.set _ZL21dequantize_block_q3_KIfEvPKvPT_.has_indirect_call, 0
	.section	.AMDGPU.csdata,"",@progbits
; Kernel info:
; codeLenInByte = 1028
; TotalNumSgprs: 14
; NumVgprs: 15
; ScratchSize: 0
; MemoryBound: 0
; FloatMode: 240
; IeeeMode: 1
; LDSByteSize: 0 bytes/workgroup (compile time only)
; SGPRBlocks: 0
; VGPRBlocks: 0
; NumSGPRsForWavesPerEU: 14
; NumVGPRsForWavesPerEU: 15
; NamedBarCnt: 0
; Occupancy: 16
; WaveLimiterHint : 0
; COMPUTE_PGM_RSRC2:SCRATCH_EN: 0
; COMPUTE_PGM_RSRC2:USER_SGPR: 2
; COMPUTE_PGM_RSRC2:TRAP_HANDLER: 0
; COMPUTE_PGM_RSRC2:TGID_X_EN: 1
; COMPUTE_PGM_RSRC2:TGID_Y_EN: 0
; COMPUTE_PGM_RSRC2:TGID_Z_EN: 0
; COMPUTE_PGM_RSRC2:TIDIG_COMP_CNT: 0
	.section	.text._ZL21dequantize_block_q4_KIfEvPKvPT_,"axG",@progbits,_ZL21dequantize_block_q4_KIfEvPKvPT_,comdat
	.globl	_ZL21dequantize_block_q4_KIfEvPKvPT_ ; -- Begin function _ZL21dequantize_block_q4_KIfEvPKvPT_
	.p2align	8
	.type	_ZL21dequantize_block_q4_KIfEvPKvPT_,@function
_ZL21dequantize_block_q4_KIfEvPKvPT_:   ; @_ZL21dequantize_block_q4_KIfEvPKvPT_
; %bb.0:
	s_load_b64 s[4:5], s[0:1], 0x0
	s_bfe_u32 s2, ttmp6, 0x4000c
	s_and_b32 s3, ttmp6, 15
	s_add_co_i32 s2, s2, 1
	v_dual_lshrrev_b32 v1, 3, v0 :: v_dual_mov_b32 v3, 0
	s_mul_i32 s2, ttmp9, s2
	v_cmp_lt_u32_e32 vcc_lo, 15, v0
	s_add_co_i32 s2, s3, s2
	s_getreg_b32 s3, hwreg(HW_REG_IB_STS2, 6, 4)
	v_lshlrev_b32_e32 v2, 1, v1
	s_cmp_eq_u32 s3, 0
	s_mov_b32 s3, 0
	s_cselect_b32 s2, ttmp9, s2
                                        ; implicit-def: $vgpr5
                                        ; implicit-def: $vgpr4
	s_delay_alu instid0(SALU_CYCLE_1) | instskip(SKIP_2) | instid1(SALU_CYCLE_1)
	s_mul_u64 s[6:7], s[2:3], 0x90
	s_wait_kmcnt 0x0
	s_add_nc_u64 s[4:5], s[4:5], s[6:7]
	v_add_nc_u64_e32 v[2:3], s[4:5], v[2:3]
	s_and_saveexec_b32 s6, vcc_lo
	s_delay_alu instid0(SALU_CYCLE_1)
	s_xor_b32 s6, exec_lo, s6
	s_cbranch_execz .LBB24_2
; %bb.1:
	s_clause 0x2
	global_load_u8 v4, v[2:3], off offset:8
	global_load_u8 v5, v[2:3], off
	global_load_u8 v6, v[2:3], off offset:4
	s_wait_loadcnt 0x2
	v_and_b32_e32 v7, 15, v4
	s_wait_loadcnt 0x1
	v_lshrrev_b16 v5, 2, v5
	v_lshrrev_b16 v8, 4, v4
	s_wait_loadcnt 0x0
	v_lshrrev_b16 v6, 2, v6
	s_delay_alu instid0(VALU_DEP_3) | instskip(NEXT) | instid1(VALU_DEP_2)
	v_bitop3_b16 v4, v5, v7, 48 bitop3:0xec
	v_bitop3_b16 v5, v6, v8, 48 bitop3:0xec
.LBB24_2:
	s_and_not1_saveexec_b32 s6, s6
	s_cbranch_execz .LBB24_4
; %bb.3:
	s_clause 0x1
	global_load_u8 v4, v[2:3], off offset:4
	global_load_u8 v5, v[2:3], off offset:8
	s_wait_loadcnt 0x1
	v_and_b32_e32 v4, 63, v4
	s_wait_loadcnt 0x0
	v_and_b32_e32 v5, 63, v5
.LBB24_4:
	s_or_b32 exec_lo, exec_lo, s6
	s_load_b32 s4, s[4:5], 0x0
                                        ; implicit-def: $vgpr7
                                        ; implicit-def: $vgpr6
	s_wait_xcnt 0x0
	s_and_saveexec_b32 s5, vcc_lo
	s_delay_alu instid0(SALU_CYCLE_1)
	s_xor_b32 s5, exec_lo, s5
	s_cbranch_execz .LBB24_6
; %bb.5:
	s_clause 0x2
	global_load_u8 v6, v[2:3], off offset:9
	global_load_u8 v7, v[2:3], off offset:1
	;; [unrolled: 1-line block ×3, first 2 shown]
	s_wait_loadcnt 0x2
	v_and_b32_e32 v9, 15, v6
	s_wait_loadcnt 0x1
	v_lshrrev_b16 v7, 2, v7
	v_lshrrev_b16 v10, 4, v6
	s_wait_loadcnt 0x0
	v_lshrrev_b16 v8, 2, v8
	s_delay_alu instid0(VALU_DEP_3) | instskip(NEXT) | instid1(VALU_DEP_2)
	v_bitop3_b16 v6, v7, v9, 48 bitop3:0xec
	v_bitop3_b16 v7, v8, v10, 48 bitop3:0xec
.LBB24_6:
	s_or_saveexec_b32 s5, s5
	s_load_b64 s[0:1], s[0:1], 0x8
	s_xor_b32 exec_lo, exec_lo, s5
	s_cbranch_execz .LBB24_8
; %bb.7:
	s_clause 0x1
	global_load_u8 v6, v[2:3], off offset:5
	global_load_u8 v7, v[2:3], off offset:9
	s_wait_loadcnt 0x1
	v_and_b32_e32 v6, 63, v6
	s_wait_loadcnt 0x0
	v_and_b32_e32 v7, 63, v7
.LBB24_8:
	s_or_b32 exec_lo, exec_lo, s5
	v_mad_co_u64_u32 v[2:3], null, v1, 30, v[2:3]
	v_dual_mov_b32 v9, 0 :: v_dual_lshlrev_b32 v0, 2, v0
	v_cvt_f32_ubyte0_e32 v4, v4
	s_wait_kmcnt 0x0
	s_cvt_hi_f32_f16 s5, s4
	s_cvt_f32_f16 s4, s4
	v_dual_lshlrev_b32 v0, 8, v1 :: v_dual_bitop2_b32 v8, 28, v0 bitop3:0x40
	v_cvt_f32_ubyte0_e32 v7, v7
	s_lshl_b64 s[2:3], s[2:3], 10
	s_delay_alu instid0(VALU_DEP_2) | instskip(SKIP_1) | instid1(VALU_DEP_2)
	v_add_nc_u64_e32 v[2:3], v[2:3], v[8:9]
	s_add_nc_u64 s[0:1], s[0:1], s[2:3]
	v_dual_mul_f32 v10, s5, v7 :: v_dual_lshlrev_b32 v8, 2, v8
	global_load_b32 v3, v[2:3], off offset:16
	s_wait_xcnt 0x0
	v_cvt_f32_ubyte0_e32 v2, v5
	v_cvt_f32_ubyte0_e32 v5, v6
	v_dual_mul_f32 v4, s4, v4 :: v_dual_mov_b32 v1, v9
	s_delay_alu instid0(VALU_DEP_2) | instskip(NEXT) | instid1(VALU_DEP_2)
	v_dual_mul_f32 v2, s5, v2 :: v_dual_mul_f32 v6, s4, v5
	v_add_nc_u64_e32 v[0:1], s[0:1], v[0:1]
	s_delay_alu instid0(VALU_DEP_1)
	v_add_nc_u64_e32 v[8:9], v[0:1], v[8:9]
	s_wait_loadcnt 0x0
	v_dual_lshrrev_b32 v5, 8, v3 :: v_dual_lshrrev_b32 v7, 24, v3
	v_bfe_u32 v11, v3, 8, 4
	v_lshrrev_b16 v14, 4, v3
	v_and_b32_e32 v12, 15, v3
	s_delay_alu instid0(VALU_DEP_4)
	v_lshrrev_b16 v5, 4, v5
	v_bfe_u32 v15, v3, 24, 4
	v_bfe_u32 v16, v3, 16, 4
	;; [unrolled: 1-line block ×3, first 2 shown]
	v_cvt_f32_ubyte0_e32 v13, v11
	v_and_b32_e32 v11, 15, v14
	v_and_b32_e32 v5, 15, v5
	v_lshrrev_b16 v7, 4, v7
	v_cvt_f32_ubyte0_e32 v12, v12
	v_cvt_f32_ubyte0_e32 v15, v15
	;; [unrolled: 1-line block ×7, first 2 shown]
	v_pk_fma_f32 v[0:1], v[4:5], v[12:13], v[2:3] op_sel_hi:[0,1,0] neg_lo:[0,0,1] neg_hi:[0,0,1]
	v_pk_fma_f32 v[2:3], v[4:5], v[14:15], v[2:3] op_sel_hi:[0,1,0] neg_lo:[0,0,1] neg_hi:[0,0,1]
	s_delay_alu instid0(VALU_DEP_4) | instskip(NEXT) | instid1(VALU_DEP_4)
	v_pk_fma_f32 v[4:5], v[6:7], v[18:19], v[10:11] op_sel_hi:[0,1,0] neg_lo:[0,0,1] neg_hi:[0,0,1]
	v_pk_fma_f32 v[6:7], v[6:7], v[16:17], v[10:11] op_sel_hi:[0,1,0] neg_lo:[0,0,1] neg_hi:[0,0,1]
	s_clause 0x1
	global_store_b128 v[8:9], v[0:3], off
	global_store_b128 v[8:9], v[4:7], off offset:128
	s_endpgm
	.section	.rodata,"a",@progbits
	.p2align	6, 0x0
	.amdhsa_kernel _ZL21dequantize_block_q4_KIfEvPKvPT_
		.amdhsa_group_segment_fixed_size 0
		.amdhsa_private_segment_fixed_size 0
		.amdhsa_kernarg_size 16
		.amdhsa_user_sgpr_count 2
		.amdhsa_user_sgpr_dispatch_ptr 0
		.amdhsa_user_sgpr_queue_ptr 0
		.amdhsa_user_sgpr_kernarg_segment_ptr 1
		.amdhsa_user_sgpr_dispatch_id 0
		.amdhsa_user_sgpr_kernarg_preload_length 0
		.amdhsa_user_sgpr_kernarg_preload_offset 0
		.amdhsa_user_sgpr_private_segment_size 0
		.amdhsa_wavefront_size32 1
		.amdhsa_uses_dynamic_stack 0
		.amdhsa_enable_private_segment 0
		.amdhsa_system_sgpr_workgroup_id_x 1
		.amdhsa_system_sgpr_workgroup_id_y 0
		.amdhsa_system_sgpr_workgroup_id_z 0
		.amdhsa_system_sgpr_workgroup_info 0
		.amdhsa_system_vgpr_workitem_id 0
		.amdhsa_next_free_vgpr 20
		.amdhsa_next_free_sgpr 8
		.amdhsa_named_barrier_count 0
		.amdhsa_reserve_vcc 1
		.amdhsa_float_round_mode_32 0
		.amdhsa_float_round_mode_16_64 0
		.amdhsa_float_denorm_mode_32 3
		.amdhsa_float_denorm_mode_16_64 3
		.amdhsa_fp16_overflow 0
		.amdhsa_memory_ordered 1
		.amdhsa_forward_progress 1
		.amdhsa_inst_pref_size 7
		.amdhsa_round_robin_scheduling 0
		.amdhsa_exception_fp_ieee_invalid_op 0
		.amdhsa_exception_fp_denorm_src 0
		.amdhsa_exception_fp_ieee_div_zero 0
		.amdhsa_exception_fp_ieee_overflow 0
		.amdhsa_exception_fp_ieee_underflow 0
		.amdhsa_exception_fp_ieee_inexact 0
		.amdhsa_exception_int_div_zero 0
	.end_amdhsa_kernel
	.section	.text._ZL21dequantize_block_q4_KIfEvPKvPT_,"axG",@progbits,_ZL21dequantize_block_q4_KIfEvPKvPT_,comdat
.Lfunc_end24:
	.size	_ZL21dequantize_block_q4_KIfEvPKvPT_, .Lfunc_end24-_ZL21dequantize_block_q4_KIfEvPKvPT_
                                        ; -- End function
	.set _ZL21dequantize_block_q4_KIfEvPKvPT_.num_vgpr, 20
	.set _ZL21dequantize_block_q4_KIfEvPKvPT_.num_agpr, 0
	.set _ZL21dequantize_block_q4_KIfEvPKvPT_.numbered_sgpr, 8
	.set _ZL21dequantize_block_q4_KIfEvPKvPT_.num_named_barrier, 0
	.set _ZL21dequantize_block_q4_KIfEvPKvPT_.private_seg_size, 0
	.set _ZL21dequantize_block_q4_KIfEvPKvPT_.uses_vcc, 1
	.set _ZL21dequantize_block_q4_KIfEvPKvPT_.uses_flat_scratch, 0
	.set _ZL21dequantize_block_q4_KIfEvPKvPT_.has_dyn_sized_stack, 0
	.set _ZL21dequantize_block_q4_KIfEvPKvPT_.has_recursion, 0
	.set _ZL21dequantize_block_q4_KIfEvPKvPT_.has_indirect_call, 0
	.section	.AMDGPU.csdata,"",@progbits
; Kernel info:
; codeLenInByte = 784
; TotalNumSgprs: 10
; NumVgprs: 20
; ScratchSize: 0
; MemoryBound: 0
; FloatMode: 240
; IeeeMode: 1
; LDSByteSize: 0 bytes/workgroup (compile time only)
; SGPRBlocks: 0
; VGPRBlocks: 1
; NumSGPRsForWavesPerEU: 10
; NumVGPRsForWavesPerEU: 20
; NamedBarCnt: 0
; Occupancy: 16
; WaveLimiterHint : 1
; COMPUTE_PGM_RSRC2:SCRATCH_EN: 0
; COMPUTE_PGM_RSRC2:USER_SGPR: 2
; COMPUTE_PGM_RSRC2:TRAP_HANDLER: 0
; COMPUTE_PGM_RSRC2:TGID_X_EN: 1
; COMPUTE_PGM_RSRC2:TGID_Y_EN: 0
; COMPUTE_PGM_RSRC2:TGID_Z_EN: 0
; COMPUTE_PGM_RSRC2:TIDIG_COMP_CNT: 0
	.section	.text._ZL21dequantize_block_q5_KIfEvPKvPT_,"axG",@progbits,_ZL21dequantize_block_q5_KIfEvPKvPT_,comdat
	.globl	_ZL21dequantize_block_q5_KIfEvPKvPT_ ; -- Begin function _ZL21dequantize_block_q5_KIfEvPKvPT_
	.p2align	8
	.type	_ZL21dequantize_block_q5_KIfEvPKvPT_,@function
_ZL21dequantize_block_q5_KIfEvPKvPT_:   ; @_ZL21dequantize_block_q5_KIfEvPKvPT_
; %bb.0:
	s_load_b64 s[4:5], s[0:1], 0x0
	s_bfe_u32 s2, ttmp6, 0x4000c
	s_and_b32 s3, ttmp6, 15
	s_add_co_i32 s2, s2, 1
	v_dual_lshrrev_b32 v1, 4, v0 :: v_dual_mov_b32 v3, 0
	s_mul_i32 s2, ttmp9, s2
	v_cmp_lt_u32_e32 vcc_lo, 31, v0
	s_add_co_i32 s2, s3, s2
	s_getreg_b32 s3, hwreg(HW_REG_IB_STS2, 6, 4)
	v_lshlrev_b32_e32 v2, 1, v1
	s_cmp_eq_u32 s3, 0
	s_mov_b32 s3, 0
	s_cselect_b32 s2, ttmp9, s2
                                        ; implicit-def: $vgpr6
	s_delay_alu instid0(SALU_CYCLE_1) | instskip(SKIP_2) | instid1(SALU_CYCLE_1)
	s_mul_u64 s[6:7], s[2:3], 0xb0
	s_wait_kmcnt 0x0
	s_add_nc_u64 s[4:5], s[4:5], s[6:7]
	v_add_nc_u64_e32 v[4:5], s[4:5], v[2:3]
                                        ; implicit-def: $vgpr3
	s_and_saveexec_b32 s6, vcc_lo
	s_delay_alu instid0(SALU_CYCLE_1)
	s_xor_b32 s6, exec_lo, s6
	s_cbranch_execz .LBB25_2
; %bb.1:
	s_clause 0x2
	global_load_u8 v3, v[4:5], off offset:8
	global_load_u8 v6, v[4:5], off
	global_load_u8 v7, v[4:5], off offset:4
	s_wait_loadcnt 0x2
	v_and_b32_e32 v8, 15, v3
	s_wait_loadcnt 0x1
	v_lshrrev_b16 v6, 2, v6
	v_lshrrev_b16 v9, 4, v3
	s_wait_loadcnt 0x0
	v_lshrrev_b16 v7, 2, v7
	s_delay_alu instid0(VALU_DEP_3) | instskip(NEXT) | instid1(VALU_DEP_2)
	v_bitop3_b16 v3, v6, v8, 48 bitop3:0xec
	v_bitop3_b16 v6, v7, v9, 48 bitop3:0xec
.LBB25_2:
	s_and_not1_saveexec_b32 s6, s6
	s_cbranch_execz .LBB25_4
; %bb.3:
	s_clause 0x1
	global_load_u8 v3, v[4:5], off offset:4
	global_load_u8 v6, v[4:5], off offset:8
	s_wait_loadcnt 0x1
	v_and_b32_e32 v3, 63, v3
	s_wait_loadcnt 0x0
	v_and_b32_e32 v6, 63, v6
.LBB25_4:
	s_or_b32 exec_lo, exec_lo, s6
	s_load_b32 s6, s[4:5], 0x0
                                        ; implicit-def: $vgpr8
                                        ; implicit-def: $vgpr7
	s_and_saveexec_b32 s7, vcc_lo
	s_delay_alu instid0(SALU_CYCLE_1)
	s_xor_b32 s7, exec_lo, s7
	s_cbranch_execz .LBB25_6
; %bb.5:
	s_clause 0x2
	global_load_u8 v7, v[4:5], off offset:9
	global_load_u8 v8, v[4:5], off offset:1
	;; [unrolled: 1-line block ×3, first 2 shown]
	s_wait_loadcnt 0x2
	v_and_b32_e32 v10, 15, v7
	s_wait_loadcnt 0x1
	v_lshrrev_b16 v8, 2, v8
	v_lshrrev_b16 v11, 4, v7
	s_wait_loadcnt 0x0
	v_lshrrev_b16 v9, 2, v9
	s_delay_alu instid0(VALU_DEP_3) | instskip(NEXT) | instid1(VALU_DEP_2)
	v_bitop3_b16 v7, v8, v10, 48 bitop3:0xec
	v_bitop3_b16 v8, v9, v11, 48 bitop3:0xec
.LBB25_6:
	s_or_saveexec_b32 s7, s7
	s_load_b64 s[0:1], s[0:1], 0x8
	s_xor_b32 exec_lo, exec_lo, s7
	s_cbranch_execz .LBB25_8
; %bb.7:
	s_clause 0x1
	global_load_u8 v7, v[4:5], off offset:5
	global_load_u8 v8, v[4:5], off offset:9
	s_wait_loadcnt 0x1
	v_and_b32_e32 v7, 63, v7
	s_wait_loadcnt 0x0
	v_and_b32_e32 v8, 63, v8
.LBB25_8:
	s_or_b32 exec_lo, exec_lo, s7
	v_mad_co_u64_u32 v[4:5], null, v1, 30, v[4:5]
	v_dual_mov_b32 v11, 0 :: v_dual_lshlrev_b32 v0, 1, v0
	v_lshlrev_b32_e64 v13, v2, 1
	v_lshlrev_b32_e64 v14, v2, 2
	v_cvt_f32_ubyte0_e32 v3, v3
	s_delay_alu instid0(VALU_DEP_4) | instskip(SKIP_3) | instid1(VALU_DEP_1)
	v_dual_lshlrev_b32 v0, 8, v1 :: v_dual_bitop2_b32 v10, 30, v0 bitop3:0x40
	s_lshl_b64 s[2:3], s[2:3], 10
	s_wait_kmcnt 0x0
	s_add_nc_u64 s[0:1], s[0:1], s[2:3]
	v_add_nc_u64_e32 v[4:5], v[4:5], v[10:11]
	s_clause 0x1
	global_load_u16 v9, v[4:5], off offset:48
	global_load_u16 v12, v10, s[4:5] offset:16
	s_wait_xcnt 0x1
	v_cvt_f32_ubyte0_e32 v5, v7
	v_cvt_f32_ubyte0_e32 v7, v8
	s_wait_xcnt 0x0
	s_cvt_hi_f32_f16 s4, s6
	v_cvt_f32_ubyte0_e32 v4, v6
	s_cvt_f32_f16 s5, s6
	s_delay_alu instid0(SALU_CYCLE_1) | instskip(NEXT) | instid1(VALU_DEP_2)
	v_dual_mov_b32 v1, v11 :: v_dual_mul_f32 v8, s4, v7
	v_dual_lshlrev_b32 v10, 2, v10 :: v_dual_mul_f32 v2, s4, v4
	s_delay_alu instid0(SALU_CYCLE_1) | instskip(NEXT) | instid1(VALU_DEP_3)
	v_dual_mul_f32 v4, s5, v3 :: v_dual_mul_f32 v6, s5, v5
	v_add_nc_u64_e32 v[0:1], s[0:1], v[0:1]
	s_delay_alu instid0(VALU_DEP_1)
	v_add_nc_u64_e32 v[0:1], v[0:1], v[10:11]
	s_wait_loadcnt 0x1
	v_lshrrev_b16 v3, 8, v9
	s_wait_loadcnt 0x0
	v_lshrrev_b16 v7, 8, v12
	v_and_b32_e32 v12, 0xff, v12
	v_lshrrev_b16 v15, 4, v9
	v_and_b32_e32 v5, 15, v9
	v_and_b32_e32 v3, 15, v3
	;; [unrolled: 1-line block ×5, first 2 shown]
	v_lshrrev_b16 v9, 12, v9
	v_and_b32_e32 v15, 15, v15
	v_and_b32_e32 v13, v13, v7
	v_cmp_eq_u32_e32 vcc_lo, 0, v16
	v_and_b32_e32 v7, v14, v7
	v_and_b32_e32 v5, 0xffff, v5
	;; [unrolled: 1-line block ×4, first 2 shown]
	v_cndmask_b32_e64 v16, 16, 0, vcc_lo
	v_cmp_eq_u32_e32 vcc_lo, 0, v12
	v_and_b32_e32 v15, 0xffff, v15
	s_delay_alu instid0(VALU_DEP_3) | instskip(SKIP_2) | instid1(VALU_DEP_2)
	v_or_b32_e32 v5, v16, v5
	v_cndmask_b32_e64 v12, 16, 0, vcc_lo
	v_cmp_eq_u32_e32 vcc_lo, 0, v13
	v_or_b32_e32 v14, v12, v15
	v_cndmask_b32_e64 v13, 16, 0, vcc_lo
	v_cmp_eq_u32_e32 vcc_lo, 0, v7
	v_cvt_f32_ubyte0_e32 v12, v5
	s_delay_alu instid0(VALU_DEP_4) | instskip(NEXT) | instid1(VALU_DEP_4)
	v_cvt_f32_ubyte0_e32 v14, v14
	v_or_b32_e32 v3, v13, v3
	v_cndmask_b32_e64 v7, 16, 0, vcc_lo
	s_delay_alu instid0(VALU_DEP_2) | instskip(NEXT) | instid1(VALU_DEP_2)
	v_cvt_f32_ubyte0_e32 v13, v3
	v_or_b32_e32 v7, v7, v9
	s_delay_alu instid0(VALU_DEP_2) | instskip(NEXT) | instid1(VALU_DEP_2)
	v_pk_fma_f32 v[2:3], v[4:5], v[12:13], v[2:3] op_sel_hi:[0,1,0] neg_lo:[0,0,1] neg_hi:[0,0,1]
	v_cvt_f32_ubyte0_e32 v15, v7
	s_delay_alu instid0(VALU_DEP_1)
	v_pk_fma_f32 v[4:5], v[6:7], v[14:15], v[8:9] op_sel_hi:[0,1,0] neg_lo:[0,0,1] neg_hi:[0,0,1]
	s_clause 0x1
	global_store_b64 v[0:1], v[2:3], off
	global_store_b64 v[0:1], v[4:5], off offset:128
	s_endpgm
	.section	.rodata,"a",@progbits
	.p2align	6, 0x0
	.amdhsa_kernel _ZL21dequantize_block_q5_KIfEvPKvPT_
		.amdhsa_group_segment_fixed_size 0
		.amdhsa_private_segment_fixed_size 0
		.amdhsa_kernarg_size 16
		.amdhsa_user_sgpr_count 2
		.amdhsa_user_sgpr_dispatch_ptr 0
		.amdhsa_user_sgpr_queue_ptr 0
		.amdhsa_user_sgpr_kernarg_segment_ptr 1
		.amdhsa_user_sgpr_dispatch_id 0
		.amdhsa_user_sgpr_kernarg_preload_length 0
		.amdhsa_user_sgpr_kernarg_preload_offset 0
		.amdhsa_user_sgpr_private_segment_size 0
		.amdhsa_wavefront_size32 1
		.amdhsa_uses_dynamic_stack 0
		.amdhsa_enable_private_segment 0
		.amdhsa_system_sgpr_workgroup_id_x 1
		.amdhsa_system_sgpr_workgroup_id_y 0
		.amdhsa_system_sgpr_workgroup_id_z 0
		.amdhsa_system_sgpr_workgroup_info 0
		.amdhsa_system_vgpr_workitem_id 0
		.amdhsa_next_free_vgpr 17
		.amdhsa_next_free_sgpr 8
		.amdhsa_named_barrier_count 0
		.amdhsa_reserve_vcc 1
		.amdhsa_float_round_mode_32 0
		.amdhsa_float_round_mode_16_64 0
		.amdhsa_float_denorm_mode_32 3
		.amdhsa_float_denorm_mode_16_64 3
		.amdhsa_fp16_overflow 0
		.amdhsa_memory_ordered 1
		.amdhsa_forward_progress 1
		.amdhsa_inst_pref_size 7
		.amdhsa_round_robin_scheduling 0
		.amdhsa_exception_fp_ieee_invalid_op 0
		.amdhsa_exception_fp_denorm_src 0
		.amdhsa_exception_fp_ieee_div_zero 0
		.amdhsa_exception_fp_ieee_overflow 0
		.amdhsa_exception_fp_ieee_underflow 0
		.amdhsa_exception_fp_ieee_inexact 0
		.amdhsa_exception_int_div_zero 0
	.end_amdhsa_kernel
	.section	.text._ZL21dequantize_block_q5_KIfEvPKvPT_,"axG",@progbits,_ZL21dequantize_block_q5_KIfEvPKvPT_,comdat
.Lfunc_end25:
	.size	_ZL21dequantize_block_q5_KIfEvPKvPT_, .Lfunc_end25-_ZL21dequantize_block_q5_KIfEvPKvPT_
                                        ; -- End function
	.set _ZL21dequantize_block_q5_KIfEvPKvPT_.num_vgpr, 17
	.set _ZL21dequantize_block_q5_KIfEvPKvPT_.num_agpr, 0
	.set _ZL21dequantize_block_q5_KIfEvPKvPT_.numbered_sgpr, 8
	.set _ZL21dequantize_block_q5_KIfEvPKvPT_.num_named_barrier, 0
	.set _ZL21dequantize_block_q5_KIfEvPKvPT_.private_seg_size, 0
	.set _ZL21dequantize_block_q5_KIfEvPKvPT_.uses_vcc, 1
	.set _ZL21dequantize_block_q5_KIfEvPKvPT_.uses_flat_scratch, 0
	.set _ZL21dequantize_block_q5_KIfEvPKvPT_.has_dyn_sized_stack, 0
	.set _ZL21dequantize_block_q5_KIfEvPKvPT_.has_recursion, 0
	.set _ZL21dequantize_block_q5_KIfEvPKvPT_.has_indirect_call, 0
	.section	.AMDGPU.csdata,"",@progbits
; Kernel info:
; codeLenInByte = 896
; TotalNumSgprs: 10
; NumVgprs: 17
; ScratchSize: 0
; MemoryBound: 0
; FloatMode: 240
; IeeeMode: 1
; LDSByteSize: 0 bytes/workgroup (compile time only)
; SGPRBlocks: 0
; VGPRBlocks: 1
; NumSGPRsForWavesPerEU: 10
; NumVGPRsForWavesPerEU: 17
; NamedBarCnt: 0
; Occupancy: 16
; WaveLimiterHint : 1
; COMPUTE_PGM_RSRC2:SCRATCH_EN: 0
; COMPUTE_PGM_RSRC2:USER_SGPR: 2
; COMPUTE_PGM_RSRC2:TRAP_HANDLER: 0
; COMPUTE_PGM_RSRC2:TGID_X_EN: 1
; COMPUTE_PGM_RSRC2:TGID_Y_EN: 0
; COMPUTE_PGM_RSRC2:TGID_Z_EN: 0
; COMPUTE_PGM_RSRC2:TIDIG_COMP_CNT: 0
	.section	.text._ZL21dequantize_block_q6_KIfEvPKvPT_,"axG",@progbits,_ZL21dequantize_block_q6_KIfEvPKvPT_,comdat
	.globl	_ZL21dequantize_block_q6_KIfEvPKvPT_ ; -- Begin function _ZL21dequantize_block_q6_KIfEvPKvPT_
	.p2align	8
	.type	_ZL21dequantize_block_q6_KIfEvPKvPT_,@function
_ZL21dequantize_block_q6_KIfEvPKvPT_:   ; @_ZL21dequantize_block_q6_KIfEvPKvPT_
; %bb.0:
	s_load_b128 s[0:3], s[0:1], 0x0
	s_bfe_u32 s6, ttmp6, 0x4000c
	s_and_b32 s4, ttmp6, 15
	s_add_co_i32 s6, s6, 1
	s_getreg_b32 s7, hwreg(HW_REG_IB_STS2, 6, 4)
	s_mul_i32 s6, ttmp9, s6
	v_dual_mov_b32 v3, 0 :: v_dual_lshrrev_b32 v8, 5, v0
	s_add_co_i32 s4, s4, s6
	s_cmp_eq_u32 s7, 0
	s_mov_b32 s5, 0
	s_cselect_b32 s4, ttmp9, s4
	v_dual_mov_b32 v5, v3 :: v_dual_lshlrev_b32 v4, 6, v8
	s_mul_u64 s[6:7], s[4:5], 0xd2
	v_mul_hi_i32_i24_e32 v7, 0xffffffc8, v8
	v_mul_i32_i24_e32 v6, 0xffffffc8, v8
	v_dual_mov_b32 v1, v3 :: v_dual_bitop2_b32 v2, 31, v0 bitop3:0x40
	s_wait_kmcnt 0x0
	s_add_nc_u64 s[0:1], s[0:1], s[6:7]
	s_delay_alu instid0(SALU_CYCLE_1)
	v_add_nc_u64_e32 v[4:5], s[0:1], v[4:5]
	global_load_u8 v9, v0, s[0:1] offset:128
	s_wait_xcnt 0x0
	v_bfe_u32 v0, v0, 4, 1
	v_add_nc_u64_e32 v[6:7], v[4:5], v[6:7]
	v_add_nc_u64_e32 v[4:5], v[4:5], v[2:3]
	s_delay_alu instid0(VALU_DEP_2)
	v_add_nc_u64_e32 v[0:1], v[6:7], v[0:1]
	s_clause 0x6
	global_load_u8 v6, v[4:5], off
	global_load_u16 v7, v3, s[0:1] offset:208
	global_load_i8 v10, v[0:1], off offset:192
	global_load_i8 v11, v[0:1], off offset:194
	;; [unrolled: 1-line block ×4, first 2 shown]
	global_load_u8 v14, v[4:5], off offset:32
	s_wait_xcnt 0x1
	v_dual_mov_b32 v1, v3 :: v_dual_lshlrev_b32 v0, 9, v8
	s_lshl_b64 s[0:1], s[4:5], 10
	s_delay_alu instid0(SALU_CYCLE_1)
	s_add_nc_u64 s[0:1], s[2:3], s[0:1]
	s_delay_alu instid0(VALU_DEP_1) | instid1(SALU_CYCLE_1)
	v_add_nc_u64_e32 v[0:1], s[0:1], v[0:1]
	s_wait_loadcnt 0x7
	s_wait_xcnt 0x0
	v_lshlrev_b16 v4, 4, v9
	s_delay_alu instid0(VALU_DEP_1) | instskip(NEXT) | instid1(VALU_DEP_1)
	v_dual_lshlrev_b32 v2, 2, v2 :: v_dual_bitop2_b32 v4, 48, v4 bitop3:0x40
	v_add_nc_u64_e32 v[0:1], v[0:1], v[2:3]
	v_lshlrev_b16 v2, 2, v9
	s_wait_loadcnt 0x6
	s_delay_alu instid0(VALU_DEP_3)
	v_bitop3_b16 v3, v6, v4, 15 bitop3:0xec
	s_wait_loadcnt 0x5
	v_cvt_f32_f16_e32 v5, v7
	s_wait_loadcnt 0x4
	v_cvt_f32_i32_e32 v7, v10
	v_and_b32_e32 v2, 48, v2
	v_lshrrev_b16 v4, 4, v6
	v_lshrrev_b16 v6, 2, v9
	s_wait_loadcnt 0x0
	v_lshrrev_b16 v8, 4, v14
	v_mul_f32_e32 v7, v5, v7
	v_bitop3_b16 v2, v14, v2, 15 bitop3:0xec
	v_bitop3_b16 v4, v4, v9, 48 bitop3:0xf8
	v_and_b32_e32 v3, 0xffff, v3
	v_bitop3_b16 v6, v8, v6, 48 bitop3:0xf8
	v_cvt_f32_i32_e32 v9, v11
	v_and_b32_e32 v2, 0xffff, v2
	v_and_b32_e32 v4, 0xffff, v4
	v_subrev_nc_u32_e32 v3, 32, v3
	v_and_b32_e32 v6, 0xffff, v6
	v_mul_f32_e32 v8, v5, v9
	v_subrev_nc_u32_e32 v2, 32, v2
	v_cvt_f32_i32_e32 v9, v12
	v_subrev_nc_u32_e32 v4, 32, v4
	v_cvt_f32_i32_e32 v10, v13
	v_subrev_nc_u32_e32 v6, 32, v6
	v_cvt_f32_i32_e32 v3, v3
	v_cvt_f32_i32_e32 v2, v2
	v_mul_f32_e32 v9, v5, v9
	v_cvt_f32_i32_e32 v4, v4
	s_delay_alu instid0(VALU_DEP_4) | instskip(SKIP_1) | instid1(VALU_DEP_3)
	v_dual_mul_f32 v5, v5, v10 :: v_dual_mul_f32 v3, v7, v3
	v_cvt_f32_i32_e32 v6, v6
	v_dual_mul_f32 v2, v8, v2 :: v_dual_mul_f32 v4, v9, v4
	s_delay_alu instid0(VALU_DEP_2)
	v_mul_f32_e32 v5, v5, v6
	s_clause 0x3
	global_store_b32 v[0:1], v3, off
	global_store_b32 v[0:1], v2, off offset:128
	global_store_b32 v[0:1], v4, off offset:256
	;; [unrolled: 1-line block ×3, first 2 shown]
	s_endpgm
	.section	.rodata,"a",@progbits
	.p2align	6, 0x0
	.amdhsa_kernel _ZL21dequantize_block_q6_KIfEvPKvPT_
		.amdhsa_group_segment_fixed_size 0
		.amdhsa_private_segment_fixed_size 0
		.amdhsa_kernarg_size 16
		.amdhsa_user_sgpr_count 2
		.amdhsa_user_sgpr_dispatch_ptr 0
		.amdhsa_user_sgpr_queue_ptr 0
		.amdhsa_user_sgpr_kernarg_segment_ptr 1
		.amdhsa_user_sgpr_dispatch_id 0
		.amdhsa_user_sgpr_kernarg_preload_length 0
		.amdhsa_user_sgpr_kernarg_preload_offset 0
		.amdhsa_user_sgpr_private_segment_size 0
		.amdhsa_wavefront_size32 1
		.amdhsa_uses_dynamic_stack 0
		.amdhsa_enable_private_segment 0
		.amdhsa_system_sgpr_workgroup_id_x 1
		.amdhsa_system_sgpr_workgroup_id_y 0
		.amdhsa_system_sgpr_workgroup_id_z 0
		.amdhsa_system_sgpr_workgroup_info 0
		.amdhsa_system_vgpr_workitem_id 0
		.amdhsa_next_free_vgpr 15
		.amdhsa_next_free_sgpr 8
		.amdhsa_named_barrier_count 0
		.amdhsa_reserve_vcc 0
		.amdhsa_float_round_mode_32 0
		.amdhsa_float_round_mode_16_64 0
		.amdhsa_float_denorm_mode_32 3
		.amdhsa_float_denorm_mode_16_64 3
		.amdhsa_fp16_overflow 0
		.amdhsa_memory_ordered 1
		.amdhsa_forward_progress 1
		.amdhsa_inst_pref_size 5
		.amdhsa_round_robin_scheduling 0
		.amdhsa_exception_fp_ieee_invalid_op 0
		.amdhsa_exception_fp_denorm_src 0
		.amdhsa_exception_fp_ieee_div_zero 0
		.amdhsa_exception_fp_ieee_overflow 0
		.amdhsa_exception_fp_ieee_underflow 0
		.amdhsa_exception_fp_ieee_inexact 0
		.amdhsa_exception_int_div_zero 0
	.end_amdhsa_kernel
	.section	.text._ZL21dequantize_block_q6_KIfEvPKvPT_,"axG",@progbits,_ZL21dequantize_block_q6_KIfEvPKvPT_,comdat
.Lfunc_end26:
	.size	_ZL21dequantize_block_q6_KIfEvPKvPT_, .Lfunc_end26-_ZL21dequantize_block_q6_KIfEvPKvPT_
                                        ; -- End function
	.set _ZL21dequantize_block_q6_KIfEvPKvPT_.num_vgpr, 15
	.set _ZL21dequantize_block_q6_KIfEvPKvPT_.num_agpr, 0
	.set _ZL21dequantize_block_q6_KIfEvPKvPT_.numbered_sgpr, 8
	.set _ZL21dequantize_block_q6_KIfEvPKvPT_.num_named_barrier, 0
	.set _ZL21dequantize_block_q6_KIfEvPKvPT_.private_seg_size, 0
	.set _ZL21dequantize_block_q6_KIfEvPKvPT_.uses_vcc, 0
	.set _ZL21dequantize_block_q6_KIfEvPKvPT_.uses_flat_scratch, 0
	.set _ZL21dequantize_block_q6_KIfEvPKvPT_.has_dyn_sized_stack, 0
	.set _ZL21dequantize_block_q6_KIfEvPKvPT_.has_recursion, 0
	.set _ZL21dequantize_block_q6_KIfEvPKvPT_.has_indirect_call, 0
	.section	.AMDGPU.csdata,"",@progbits
; Kernel info:
; codeLenInByte = 588
; TotalNumSgprs: 8
; NumVgprs: 15
; ScratchSize: 0
; MemoryBound: 0
; FloatMode: 240
; IeeeMode: 1
; LDSByteSize: 0 bytes/workgroup (compile time only)
; SGPRBlocks: 0
; VGPRBlocks: 0
; NumSGPRsForWavesPerEU: 8
; NumVGPRsForWavesPerEU: 15
; NamedBarCnt: 0
; Occupancy: 16
; WaveLimiterHint : 0
; COMPUTE_PGM_RSRC2:SCRATCH_EN: 0
; COMPUTE_PGM_RSRC2:USER_SGPR: 2
; COMPUTE_PGM_RSRC2:TRAP_HANDLER: 0
; COMPUTE_PGM_RSRC2:TGID_X_EN: 1
; COMPUTE_PGM_RSRC2:TGID_Y_EN: 0
; COMPUTE_PGM_RSRC2:TGID_Z_EN: 0
; COMPUTE_PGM_RSRC2:TIDIG_COMP_CNT: 0
	.section	.text._ZL24dequantize_block_iq2_xxsIfEvPKvPT_,"axG",@progbits,_ZL24dequantize_block_iq2_xxsIfEvPKvPT_,comdat
	.globl	_ZL24dequantize_block_iq2_xxsIfEvPKvPT_ ; -- Begin function _ZL24dequantize_block_iq2_xxsIfEvPKvPT_
	.p2align	8
	.type	_ZL24dequantize_block_iq2_xxsIfEvPKvPT_,@function
_ZL24dequantize_block_iq2_xxsIfEvPKvPT_: ; @_ZL24dequantize_block_iq2_xxsIfEvPKvPT_
; %bb.0:
	s_load_b128 s[0:3], s[0:1], 0x0
	s_bfe_u32 s6, ttmp6, 0x4000c
	s_and_b32 s4, ttmp6, 15
	s_add_co_i32 s6, s6, 1
	s_getreg_b32 s7, hwreg(HW_REG_IB_STS2, 6, 4)
	s_mul_i32 s6, ttmp9, s6
	v_dual_mov_b32 v3, 0 :: v_dual_bitop2_b32 v8, 7, v0 bitop3:0x40
	s_add_co_i32 s4, s4, s6
	s_cmp_eq_u32 s7, 0
	s_mov_b32 s5, 0
	s_cselect_b32 s4, ttmp9, s4
	v_dual_mov_b32 v5, v3 :: v_dual_lshlrev_b32 v4, 3, v8
	s_mul_u64 s[6:7], s[4:5], 0x42
	v_lshrrev_b32_e32 v2, 3, v0
	s_wait_kmcnt 0x0
	s_add_nc_u64 s[0:1], s[0:1], s[6:7]
	s_delay_alu instid0(SALU_CYCLE_1)
	v_add_nc_u64_e32 v[6:7], s[0:1], v[4:5]
	global_load_b32 v1, v4, s[0:1] offset:6
	s_wait_xcnt 0x0
	v_add_nc_u64_e32 v[4:5], v[6:7], v[2:3]
	v_mul_u32_u24_e32 v2, 7, v2
	s_clause 0x1
	global_load_u8 v6, v[4:5], off offset:2
	global_load_u16 v7, v3, s[0:1]
	s_wait_xcnt 0x0
	s_get_pc_i64 s[0:1]
	s_add_nc_u64 s[0:1], s[0:1], _ZL12ksigns_iq2xs@rel64+4
	s_wait_loadcnt 0x2
	v_bfe_u32 v12, v1, v2, 7
	v_dual_mov_b32 v1, v3 :: v_dual_lshrrev_b32 v2, 28, v1
	global_load_u8 v10, v12, s[0:1]
	s_wait_xcnt 0x0
	s_get_pc_i64 s[0:1]
	s_add_nc_u64 s[0:1], s[0:1], _ZL11iq2xxs_grid@rel64+4
	s_wait_loadcnt 0x2
	global_load_b64 v[4:5], v6, s[0:1] scale_offset
	s_wait_xcnt 0x0
	v_and_b32_e32 v6, 0x3f8, v0
	v_lshlrev_b32_e32 v0, 7, v8
	v_cvt_f32_ubyte0_e32 v2, v2
	s_lshl_b64 s[0:1], s[4:5], 10
	s_wait_loadcnt 0x2
	v_cvt_f32_f16_e32 v7, v7
	s_add_nc_u64 s[0:1], s[2:3], s[0:1]
	s_delay_alu instid0(SALU_CYCLE_1)
	v_add_nc_u64_e32 v[0:1], s[0:1], v[0:1]
	s_wait_loadcnt 0x1
	v_bfe_i32 v13, v10, 0, 8
	v_and_b32_e32 v15, 2, v10
	v_and_b32_e32 v16, 1, v10
	;; [unrolled: 1-line block ×3, first 2 shown]
	s_wait_loadcnt 0x0
	v_cvt_f32_ubyte0_e32 v19, v5
	v_add_f32_e32 v8, 0.5, v2
	v_lshlrev_b32_e32 v2, 2, v6
	v_cvt_f32_ubyte3_e32 v20, v5
	v_cvt_f32_ubyte2_e32 v11, v5
	s_delay_alu instid0(VALU_DEP_4) | instskip(NEXT) | instid1(VALU_DEP_4)
	v_mul_f32_e32 v6, v8, v7
	v_add_nc_u64_e32 v[8:9], v[0:1], v[2:3]
	v_cvt_f32_ubyte3_e32 v7, v4
	v_cvt_f32_ubyte1_e32 v3, v4
	v_cvt_f32_ubyte0_e32 v2, v4
	v_mul_f32_e32 v0, 0x3e800000, v6
	v_and_b32_e32 v1, 8, v10
	v_cvt_f32_ubyte2_e32 v6, v4
	s_delay_alu instid0(VALU_DEP_3) | instskip(SKIP_1) | instid1(VALU_DEP_4)
	v_dual_mul_f32 v19, v0, v19 :: v_dual_bitop2_b32 v17, 16, v10 bitop3:0x40
	v_mul_f32_e32 v20, v0, v20
	v_cmp_eq_u16_e32 vcc_lo, 0, v1
	v_and_b32_e32 v14, 4, v10
	v_cvt_f32_ubyte1_e32 v10, v5
	v_pk_mul_f32 v[4:5], v[0:1], v[6:7] op_sel_hi:[0,1]
	v_pk_mul_f32 v[6:7], v[0:1], v[2:3] op_sel_hi:[0,1]
	s_delay_alu instid0(VALU_DEP_3) | instskip(NEXT) | instid1(VALU_DEP_3)
	v_pk_mul_f32 v[10:11], v[0:1], v[10:11] op_sel_hi:[0,1]
	v_cndmask_b32_e64 v3, -v5, v5, vcc_lo
	v_cmp_eq_u16_e32 vcc_lo, 0, v14
	v_cndmask_b32_e64 v2, -v4, v4, vcc_lo
	v_cmp_eq_u16_e32 vcc_lo, 0, v15
	;; [unrolled: 2-line block ×4, first 2 shown]
	v_cndmask_b32_e64 v4, -v19, v19, vcc_lo
	v_cmp_gt_u32_e32 vcc_lo, 64, v12
	v_cndmask_b32_e64 v6, -v11, v11, vcc_lo
	v_cmp_eq_u16_e32 vcc_lo, 0, v18
	v_cndmask_b32_e64 v5, -v10, v10, vcc_lo
	v_cmp_gt_i16_e32 vcc_lo, 0, v13
	v_cndmask_b32_e64 v7, v20, -v20, vcc_lo
	s_clause 0x1
	global_store_b128 v[8:9], v[0:3], off
	global_store_b128 v[8:9], v[4:7], off offset:16
	s_endpgm
	.section	.rodata,"a",@progbits
	.p2align	6, 0x0
	.amdhsa_kernel _ZL24dequantize_block_iq2_xxsIfEvPKvPT_
		.amdhsa_group_segment_fixed_size 0
		.amdhsa_private_segment_fixed_size 0
		.amdhsa_kernarg_size 16
		.amdhsa_user_sgpr_count 2
		.amdhsa_user_sgpr_dispatch_ptr 0
		.amdhsa_user_sgpr_queue_ptr 0
		.amdhsa_user_sgpr_kernarg_segment_ptr 1
		.amdhsa_user_sgpr_dispatch_id 0
		.amdhsa_user_sgpr_kernarg_preload_length 0
		.amdhsa_user_sgpr_kernarg_preload_offset 0
		.amdhsa_user_sgpr_private_segment_size 0
		.amdhsa_wavefront_size32 1
		.amdhsa_uses_dynamic_stack 0
		.amdhsa_enable_private_segment 0
		.amdhsa_system_sgpr_workgroup_id_x 1
		.amdhsa_system_sgpr_workgroup_id_y 0
		.amdhsa_system_sgpr_workgroup_id_z 0
		.amdhsa_system_sgpr_workgroup_info 0
		.amdhsa_system_vgpr_workitem_id 0
		.amdhsa_next_free_vgpr 21
		.amdhsa_next_free_sgpr 8
		.amdhsa_named_barrier_count 0
		.amdhsa_reserve_vcc 1
		.amdhsa_float_round_mode_32 0
		.amdhsa_float_round_mode_16_64 0
		.amdhsa_float_denorm_mode_32 3
		.amdhsa_float_denorm_mode_16_64 3
		.amdhsa_fp16_overflow 0
		.amdhsa_memory_ordered 1
		.amdhsa_forward_progress 1
		.amdhsa_inst_pref_size 5
		.amdhsa_round_robin_scheduling 0
		.amdhsa_exception_fp_ieee_invalid_op 0
		.amdhsa_exception_fp_denorm_src 0
		.amdhsa_exception_fp_ieee_div_zero 0
		.amdhsa_exception_fp_ieee_overflow 0
		.amdhsa_exception_fp_ieee_underflow 0
		.amdhsa_exception_fp_ieee_inexact 0
		.amdhsa_exception_int_div_zero 0
	.end_amdhsa_kernel
	.section	.text._ZL24dequantize_block_iq2_xxsIfEvPKvPT_,"axG",@progbits,_ZL24dequantize_block_iq2_xxsIfEvPKvPT_,comdat
.Lfunc_end27:
	.size	_ZL24dequantize_block_iq2_xxsIfEvPKvPT_, .Lfunc_end27-_ZL24dequantize_block_iq2_xxsIfEvPKvPT_
                                        ; -- End function
	.set _ZL24dequantize_block_iq2_xxsIfEvPKvPT_.num_vgpr, 21
	.set _ZL24dequantize_block_iq2_xxsIfEvPKvPT_.num_agpr, 0
	.set _ZL24dequantize_block_iq2_xxsIfEvPKvPT_.numbered_sgpr, 8
	.set _ZL24dequantize_block_iq2_xxsIfEvPKvPT_.num_named_barrier, 0
	.set _ZL24dequantize_block_iq2_xxsIfEvPKvPT_.private_seg_size, 0
	.set _ZL24dequantize_block_iq2_xxsIfEvPKvPT_.uses_vcc, 1
	.set _ZL24dequantize_block_iq2_xxsIfEvPKvPT_.uses_flat_scratch, 0
	.set _ZL24dequantize_block_iq2_xxsIfEvPKvPT_.has_dyn_sized_stack, 0
	.set _ZL24dequantize_block_iq2_xxsIfEvPKvPT_.has_recursion, 0
	.set _ZL24dequantize_block_iq2_xxsIfEvPKvPT_.has_indirect_call, 0
	.section	.AMDGPU.csdata,"",@progbits
; Kernel info:
; codeLenInByte = 552
; TotalNumSgprs: 10
; NumVgprs: 21
; ScratchSize: 0
; MemoryBound: 0
; FloatMode: 240
; IeeeMode: 1
; LDSByteSize: 0 bytes/workgroup (compile time only)
; SGPRBlocks: 0
; VGPRBlocks: 1
; NumSGPRsForWavesPerEU: 10
; NumVGPRsForWavesPerEU: 21
; NamedBarCnt: 0
; Occupancy: 16
; WaveLimiterHint : 0
; COMPUTE_PGM_RSRC2:SCRATCH_EN: 0
; COMPUTE_PGM_RSRC2:USER_SGPR: 2
; COMPUTE_PGM_RSRC2:TRAP_HANDLER: 0
; COMPUTE_PGM_RSRC2:TGID_X_EN: 1
; COMPUTE_PGM_RSRC2:TGID_Y_EN: 0
; COMPUTE_PGM_RSRC2:TGID_Z_EN: 0
; COMPUTE_PGM_RSRC2:TIDIG_COMP_CNT: 0
	.section	.text._ZL23dequantize_block_iq2_xsIfEvPKvPT_,"axG",@progbits,_ZL23dequantize_block_iq2_xsIfEvPKvPT_,comdat
	.globl	_ZL23dequantize_block_iq2_xsIfEvPKvPT_ ; -- Begin function _ZL23dequantize_block_iq2_xsIfEvPKvPT_
	.p2align	8
	.type	_ZL23dequantize_block_iq2_xsIfEvPKvPT_,@function
_ZL23dequantize_block_iq2_xsIfEvPKvPT_: ; @_ZL23dequantize_block_iq2_xsIfEvPKvPT_
; %bb.0:
	s_load_b128 s[0:3], s[0:1], 0x0
	s_bfe_u32 s4, ttmp6, 0x4000c
	s_and_b32 s6, ttmp6, 15
	s_add_co_i32 s4, s4, 1
	s_getreg_b32 s7, hwreg(HW_REG_IB_STS2, 6, 4)
	s_mul_i32 s4, ttmp9, s4
	v_dual_mov_b32 v3, 0 :: v_dual_bitop2_b32 v6, 7, v0 bitop3:0x40
	s_add_co_i32 s6, s6, s4
	s_cmp_eq_u32 s7, 0
	s_mov_b32 s5, 0
	s_cselect_b32 s4, ttmp9, s6
	v_lshlrev_b32_e32 v2, 7, v6
	s_lshl_b64 s[6:7], s[4:5], 10
	v_and_b32_e32 v1, 0x3f8, v0
	s_wait_kmcnt 0x0
	s_add_nc_u64 s[2:3], s[2:3], s[6:7]
	s_delay_alu instid0(SALU_CYCLE_1) | instskip(NEXT) | instid1(VALU_DEP_2)
	v_add_nc_u64_e32 v[4:5], s[2:3], v[2:3]
	v_lshlrev_b32_e32 v2, 2, v1
	s_mul_u64 s[2:3], s[4:5], 0x4a
	s_delay_alu instid0(SALU_CYCLE_1) | instskip(SKIP_2) | instid1(VALU_DEP_2)
	s_add_nc_u64 s[0:1], s[0:1], s[2:3]
	s_get_pc_i64 s[2:3]
	s_add_nc_u64 s[2:3], s[2:3], _ZL12ksigns_iq2xs@rel64+4
	v_add_nc_u64_e32 v[8:9], v[4:5], v[2:3]
	v_dual_lshlrev_b32 v2, 3, v6 :: v_dual_lshrrev_b32 v4, 2, v0
	s_delay_alu instid0(VALU_DEP_1) | instskip(NEXT) | instid1(VALU_DEP_2)
	v_add_nc_u64_e32 v[0:1], s[0:1], v[2:3]
	v_and_b32_e32 v2, 0xfe, v4
	s_delay_alu instid0(VALU_DEP_1)
	v_add_nc_u64_e32 v[0:1], v[0:1], v[2:3]
	s_clause 0x2
	global_load_u16 v12, v[0:1], off offset:2
	global_load_u16 v2, v3, s[0:1]
	global_load_u8 v5, v6, s[0:1] offset:66
	s_wait_xcnt 0x0
	s_get_pc_i64 s[0:1]
	s_add_nc_u64 s[0:1], s[0:1], _ZL10iq2xs_grid@rel64+4
	s_wait_loadcnt 0x2
	v_and_b32_e32 v0, 0xffff, v12
	v_and_b32_e32 v1, 0x1ff, v12
	s_wait_loadcnt 0x1
	v_cvt_f32_f16_e32 v2, v2
	s_delay_alu instid0(VALU_DEP_3) | instskip(NEXT) | instid1(VALU_DEP_3)
	v_lshrrev_b32_e32 v3, 9, v0
	v_and_b32_e32 v6, 0xffff, v1
	global_load_u8 v10, v3, s[2:3]
	global_load_b64 v[0:1], v6, s[0:1] scale_offset
	s_wait_xcnt 0x1
	v_and_b32_e32 v3, 0xfc, v4
	s_wait_loadcnt 0x2
	s_delay_alu instid0(VALU_DEP_1) | instskip(NEXT) | instid1(VALU_DEP_1)
	v_bfe_u32 v3, v5, v3, 4
	v_cvt_f32_ubyte0_e32 v3, v3
	s_delay_alu instid0(VALU_DEP_1) | instskip(NEXT) | instid1(VALU_DEP_1)
	v_add_f32_e32 v3, 0.5, v3
	v_mul_f32_e32 v2, v3, v2
	s_delay_alu instid0(VALU_DEP_1)
	v_mul_f32_e32 v2, 0x3e800000, v2
	s_wait_loadcnt 0x1
	v_bfe_i32 v13, v10, 0, 8
	s_wait_loadcnt 0x0
	v_cvt_f32_ubyte1_e32 v5, v0
	v_cvt_f32_ubyte0_e32 v4, v0
	v_cvt_f32_ubyte3_e32 v7, v0
	v_cvt_f32_ubyte2_e32 v6, v0
	v_cvt_f32_ubyte0_e32 v17, v1
	v_and_b32_e32 v3, 8, v10
	v_and_b32_e32 v15, 2, v10
	v_cvt_f32_ubyte1_e32 v19, v1
	v_and_b32_e32 v14, 4, v10
	v_cvt_f32_ubyte3_e32 v11, v1
	v_dual_mul_f32 v17, v2, v17 :: v_dual_bitop2_b32 v20, 32, v10 bitop3:0x40
	v_pk_mul_f32 v[4:5], v[2:3], v[4:5] op_sel_hi:[0,1]
	v_and_b32_e32 v16, 1, v10
	v_and_b32_e32 v18, 16, v10
	v_cvt_f32_ubyte2_e32 v10, v1
	v_pk_mul_f32 v[0:1], v[2:3], v[6:7] op_sel_hi:[0,1]
	v_cmp_eq_u16_e32 vcc_lo, 0, v3
	v_mul_f32_e32 v19, v2, v19
	s_delay_alu instid0(VALU_DEP_4) | instskip(NEXT) | instid1(VALU_DEP_4)
	v_pk_mul_f32 v[6:7], v[2:3], v[10:11] op_sel_hi:[0,1]
	v_cndmask_b32_e64 v3, -v1, v1, vcc_lo
	v_cmp_eq_u16_e32 vcc_lo, 0, v14
	v_cndmask_b32_e64 v2, -v0, v0, vcc_lo
	v_cmp_eq_u16_e32 vcc_lo, 0, v15
	;; [unrolled: 2-line block ×5, first 2 shown]
	v_cndmask_b32_e64 v5, -v19, v19, vcc_lo
	v_cmp_gt_i16_e32 vcc_lo, 0, v13
	v_cndmask_b32_e64 v7, v7, -v7, vcc_lo
	v_cmp_gt_i16_e32 vcc_lo, 0, v12
	v_cndmask_b32_e64 v6, v6, -v6, vcc_lo
	s_clause 0x1
	global_store_b128 v[8:9], v[0:3], off
	global_store_b128 v[8:9], v[4:7], off offset:16
	s_endpgm
	.section	.rodata,"a",@progbits
	.p2align	6, 0x0
	.amdhsa_kernel _ZL23dequantize_block_iq2_xsIfEvPKvPT_
		.amdhsa_group_segment_fixed_size 0
		.amdhsa_private_segment_fixed_size 0
		.amdhsa_kernarg_size 16
		.amdhsa_user_sgpr_count 2
		.amdhsa_user_sgpr_dispatch_ptr 0
		.amdhsa_user_sgpr_queue_ptr 0
		.amdhsa_user_sgpr_kernarg_segment_ptr 1
		.amdhsa_user_sgpr_dispatch_id 0
		.amdhsa_user_sgpr_kernarg_preload_length 0
		.amdhsa_user_sgpr_kernarg_preload_offset 0
		.amdhsa_user_sgpr_private_segment_size 0
		.amdhsa_wavefront_size32 1
		.amdhsa_uses_dynamic_stack 0
		.amdhsa_enable_private_segment 0
		.amdhsa_system_sgpr_workgroup_id_x 1
		.amdhsa_system_sgpr_workgroup_id_y 0
		.amdhsa_system_sgpr_workgroup_id_z 0
		.amdhsa_system_sgpr_workgroup_info 0
		.amdhsa_system_vgpr_workitem_id 0
		.amdhsa_next_free_vgpr 21
		.amdhsa_next_free_sgpr 8
		.amdhsa_named_barrier_count 0
		.amdhsa_reserve_vcc 1
		.amdhsa_float_round_mode_32 0
		.amdhsa_float_round_mode_16_64 0
		.amdhsa_float_denorm_mode_32 3
		.amdhsa_float_denorm_mode_16_64 3
		.amdhsa_fp16_overflow 0
		.amdhsa_memory_ordered 1
		.amdhsa_forward_progress 1
		.amdhsa_inst_pref_size 5
		.amdhsa_round_robin_scheduling 0
		.amdhsa_exception_fp_ieee_invalid_op 0
		.amdhsa_exception_fp_denorm_src 0
		.amdhsa_exception_fp_ieee_div_zero 0
		.amdhsa_exception_fp_ieee_overflow 0
		.amdhsa_exception_fp_ieee_underflow 0
		.amdhsa_exception_fp_ieee_inexact 0
		.amdhsa_exception_int_div_zero 0
	.end_amdhsa_kernel
	.section	.text._ZL23dequantize_block_iq2_xsIfEvPKvPT_,"axG",@progbits,_ZL23dequantize_block_iq2_xsIfEvPKvPT_,comdat
.Lfunc_end28:
	.size	_ZL23dequantize_block_iq2_xsIfEvPKvPT_, .Lfunc_end28-_ZL23dequantize_block_iq2_xsIfEvPKvPT_
                                        ; -- End function
	.set _ZL23dequantize_block_iq2_xsIfEvPKvPT_.num_vgpr, 21
	.set _ZL23dequantize_block_iq2_xsIfEvPKvPT_.num_agpr, 0
	.set _ZL23dequantize_block_iq2_xsIfEvPKvPT_.numbered_sgpr, 8
	.set _ZL23dequantize_block_iq2_xsIfEvPKvPT_.num_named_barrier, 0
	.set _ZL23dequantize_block_iq2_xsIfEvPKvPT_.private_seg_size, 0
	.set _ZL23dequantize_block_iq2_xsIfEvPKvPT_.uses_vcc, 1
	.set _ZL23dequantize_block_iq2_xsIfEvPKvPT_.uses_flat_scratch, 0
	.set _ZL23dequantize_block_iq2_xsIfEvPKvPT_.has_dyn_sized_stack, 0
	.set _ZL23dequantize_block_iq2_xsIfEvPKvPT_.has_recursion, 0
	.set _ZL23dequantize_block_iq2_xsIfEvPKvPT_.has_indirect_call, 0
	.section	.AMDGPU.csdata,"",@progbits
; Kernel info:
; codeLenInByte = 592
; TotalNumSgprs: 10
; NumVgprs: 21
; ScratchSize: 0
; MemoryBound: 0
; FloatMode: 240
; IeeeMode: 1
; LDSByteSize: 0 bytes/workgroup (compile time only)
; SGPRBlocks: 0
; VGPRBlocks: 1
; NumSGPRsForWavesPerEU: 10
; NumVGPRsForWavesPerEU: 21
; NamedBarCnt: 0
; Occupancy: 16
; WaveLimiterHint : 0
; COMPUTE_PGM_RSRC2:SCRATCH_EN: 0
; COMPUTE_PGM_RSRC2:USER_SGPR: 2
; COMPUTE_PGM_RSRC2:TRAP_HANDLER: 0
; COMPUTE_PGM_RSRC2:TGID_X_EN: 1
; COMPUTE_PGM_RSRC2:TGID_Y_EN: 0
; COMPUTE_PGM_RSRC2:TGID_Z_EN: 0
; COMPUTE_PGM_RSRC2:TIDIG_COMP_CNT: 0
	.section	.text._ZL22dequantize_block_iq2_sIfEvPKvPT_,"axG",@progbits,_ZL22dequantize_block_iq2_sIfEvPKvPT_,comdat
	.globl	_ZL22dequantize_block_iq2_sIfEvPKvPT_ ; -- Begin function _ZL22dequantize_block_iq2_sIfEvPKvPT_
	.p2align	8
	.type	_ZL22dequantize_block_iq2_sIfEvPKvPT_,@function
_ZL22dequantize_block_iq2_sIfEvPKvPT_:  ; @_ZL22dequantize_block_iq2_sIfEvPKvPT_
; %bb.0:
	s_load_b128 s[0:3], s[0:1], 0x0
	s_bfe_u32 s6, ttmp6, 0x4000c
	s_and_b32 s4, ttmp6, 15
	s_add_co_i32 s6, s6, 1
	s_getreg_b32 s7, hwreg(HW_REG_IB_STS2, 6, 4)
	s_mul_i32 s6, ttmp9, s6
	v_dual_mov_b32 v3, 0 :: v_dual_bitop2_b32 v1, 7, v0 bitop3:0x40
	s_add_co_i32 s4, s4, s6
	s_cmp_eq_u32 s7, 0
	s_mov_b32 s5, 0
	s_cselect_b32 s4, ttmp9, s4
	v_dual_mov_b32 v5, v3 :: v_dual_lshlrev_b32 v4, 2, v1
	s_mul_u64 s[6:7], s[4:5], 0x52
	v_lshrrev_b32_e32 v2, 3, v0
	v_and_b32_e32 v9, 0x3f8, v0
	s_wait_kmcnt 0x0
	s_add_nc_u64 s[0:1], s[0:1], s[6:7]
	s_delay_alu instid0(SALU_CYCLE_1) | instskip(NEXT) | instid1(VALU_DEP_1)
	v_add_nc_u64_e32 v[4:5], s[0:1], v[4:5]
	v_add_nc_u64_e32 v[4:5], v[4:5], v[2:3]
	v_lshlrev_b32_e32 v2, 1, v2
	s_clause 0x3
	global_load_u8 v6, v1, s[0:1] offset:66
	global_load_u8 v7, v[4:5], off offset:2
	global_load_u8 v10, v[4:5], off offset:34
	global_load_u8 v8, v1, s[0:1] offset:74
	v_sub_nc_u32_e32 v2, 8, v2
	global_load_u16 v11, v3, s[0:1]
	s_wait_xcnt 0x0
	s_get_pc_i64 s[0:1]
	s_add_nc_u64 s[0:1], s[0:1], _ZL9iq2s_grid@rel64+4
	s_wait_loadcnt 0x4
	v_dual_lshlrev_b32 v2, v2, v6 :: v_dual_lshlrev_b32 v6, 7, v1
	s_wait_loadcnt 0x2
	v_and_b32_e32 v12, 8, v10
	v_and_b32_e32 v13, 4, v10
	s_delay_alu instid0(VALU_DEP_3) | instskip(SKIP_1) | instid1(VALU_DEP_4)
	v_and_or_b32 v2, 0x300, v2, v7
	v_mov_b32_e32 v7, v3
	v_cmp_eq_u16_e32 vcc_lo, 0, v12
	global_load_b64 v[4:5], v2, s[0:1] scale_offset
	s_wait_xcnt 0x0
	v_lshrrev_b32_e32 v2, 2, v0
	s_lshl_b64 s[0:1], s[4:5], 10
	s_delay_alu instid0(SALU_CYCLE_1) | instskip(NEXT) | instid1(VALU_DEP_1)
	s_add_nc_u64 s[0:1], s[2:3], s[0:1]
	v_and_b32_e32 v2, 0xfc, v2
	v_add_nc_u64_e32 v[0:1], s[0:1], v[6:7]
	s_wait_loadcnt 0x2
	s_delay_alu instid0(VALU_DEP_2) | instskip(SKIP_1) | instid1(VALU_DEP_2)
	v_bfe_u32 v8, v8, v2, 4
	v_lshlrev_b32_e32 v2, 2, v9
	v_cvt_f32_ubyte0_e32 v6, v8
	s_delay_alu instid0(VALU_DEP_2) | instskip(SKIP_4) | instid1(VALU_DEP_1)
	v_add_nc_u64_e32 v[8:9], v[0:1], v[2:3]
	s_wait_loadcnt 0x1
	v_cvt_f32_f16_e32 v0, v11
	v_bfe_i32 v11, v10, 0, 8
	v_add_f32_e32 v1, 0.5, v6
	v_mul_f32_e32 v0, v1, v0
	s_delay_alu instid0(VALU_DEP_1)
	v_mul_f32_e32 v0, 0x3e800000, v0
	s_wait_loadcnt 0x0
	v_cvt_f32_ubyte3_e32 v7, v4
	v_cvt_f32_ubyte2_e32 v6, v4
	v_cvt_f32_ubyte0_e32 v1, v5
	v_cvt_f32_ubyte1_e32 v3, v4
	v_cvt_f32_ubyte0_e32 v2, v4
	v_cvt_f32_ubyte1_e32 v18, v5
	v_cvt_f32_ubyte2_e32 v19, v5
	v_cvt_f32_ubyte3_e32 v20, v5
	v_pk_mul_f32 v[4:5], v[0:1], v[6:7] op_sel_hi:[0,1]
	v_dual_mul_f32 v21, v0, v1 :: v_dual_bitop2_b32 v14, 2, v10 bitop3:0x40
	v_and_b32_e32 v17, 32, v10
	v_pk_mul_f32 v[6:7], v[0:1], v[2:3] op_sel_hi:[0,1]
	s_delay_alu instid0(VALU_DEP_4)
	v_cndmask_b32_e64 v3, -v5, v5, vcc_lo
	v_cmp_eq_u16_e32 vcc_lo, 0, v13
	v_dual_mul_f32 v19, v0, v19 :: v_dual_bitop2_b32 v15, 1, v10 bitop3:0x40
	v_dual_mul_f32 v20, v0, v20 :: v_dual_bitop2_b32 v16, 16, v10 bitop3:0x40
	v_dual_cndmask_b32 v2, -v4, v4, vcc_lo :: v_dual_bitop2_b32 v10, 64, v10 bitop3:0x40
	v_cmp_eq_u16_e32 vcc_lo, 0, v14
	v_dual_mul_f32 v18, v0, v18 :: v_dual_cndmask_b32 v1, -v7, v7, vcc_lo
	v_cmp_eq_u16_e32 vcc_lo, 0, v15
	v_cndmask_b32_e64 v0, -v6, v6, vcc_lo
	v_cmp_eq_u16_e32 vcc_lo, 0, v16
	v_cndmask_b32_e64 v4, -v21, v21, vcc_lo
	;; [unrolled: 2-line block ×4, first 2 shown]
	v_cmp_gt_i16_e32 vcc_lo, 0, v11
	v_cndmask_b32_e64 v7, v20, -v20, vcc_lo
	s_clause 0x1
	global_store_b128 v[8:9], v[0:3], off
	global_store_b128 v[8:9], v[4:7], off offset:16
	s_endpgm
	.section	.rodata,"a",@progbits
	.p2align	6, 0x0
	.amdhsa_kernel _ZL22dequantize_block_iq2_sIfEvPKvPT_
		.amdhsa_group_segment_fixed_size 0
		.amdhsa_private_segment_fixed_size 0
		.amdhsa_kernarg_size 16
		.amdhsa_user_sgpr_count 2
		.amdhsa_user_sgpr_dispatch_ptr 0
		.amdhsa_user_sgpr_queue_ptr 0
		.amdhsa_user_sgpr_kernarg_segment_ptr 1
		.amdhsa_user_sgpr_dispatch_id 0
		.amdhsa_user_sgpr_kernarg_preload_length 0
		.amdhsa_user_sgpr_kernarg_preload_offset 0
		.amdhsa_user_sgpr_private_segment_size 0
		.amdhsa_wavefront_size32 1
		.amdhsa_uses_dynamic_stack 0
		.amdhsa_enable_private_segment 0
		.amdhsa_system_sgpr_workgroup_id_x 1
		.amdhsa_system_sgpr_workgroup_id_y 0
		.amdhsa_system_sgpr_workgroup_id_z 0
		.amdhsa_system_sgpr_workgroup_info 0
		.amdhsa_system_vgpr_workitem_id 0
		.amdhsa_next_free_vgpr 22
		.amdhsa_next_free_sgpr 8
		.amdhsa_named_barrier_count 0
		.amdhsa_reserve_vcc 1
		.amdhsa_float_round_mode_32 0
		.amdhsa_float_round_mode_16_64 0
		.amdhsa_float_denorm_mode_32 3
		.amdhsa_float_denorm_mode_16_64 3
		.amdhsa_fp16_overflow 0
		.amdhsa_memory_ordered 1
		.amdhsa_forward_progress 1
		.amdhsa_inst_pref_size 5
		.amdhsa_round_robin_scheduling 0
		.amdhsa_exception_fp_ieee_invalid_op 0
		.amdhsa_exception_fp_denorm_src 0
		.amdhsa_exception_fp_ieee_div_zero 0
		.amdhsa_exception_fp_ieee_overflow 0
		.amdhsa_exception_fp_ieee_underflow 0
		.amdhsa_exception_fp_ieee_inexact 0
		.amdhsa_exception_int_div_zero 0
	.end_amdhsa_kernel
	.section	.text._ZL22dequantize_block_iq2_sIfEvPKvPT_,"axG",@progbits,_ZL22dequantize_block_iq2_sIfEvPKvPT_,comdat
.Lfunc_end29:
	.size	_ZL22dequantize_block_iq2_sIfEvPKvPT_, .Lfunc_end29-_ZL22dequantize_block_iq2_sIfEvPKvPT_
                                        ; -- End function
	.set _ZL22dequantize_block_iq2_sIfEvPKvPT_.num_vgpr, 22
	.set _ZL22dequantize_block_iq2_sIfEvPKvPT_.num_agpr, 0
	.set _ZL22dequantize_block_iq2_sIfEvPKvPT_.numbered_sgpr, 8
	.set _ZL22dequantize_block_iq2_sIfEvPKvPT_.num_named_barrier, 0
	.set _ZL22dequantize_block_iq2_sIfEvPKvPT_.private_seg_size, 0
	.set _ZL22dequantize_block_iq2_sIfEvPKvPT_.uses_vcc, 1
	.set _ZL22dequantize_block_iq2_sIfEvPKvPT_.uses_flat_scratch, 0
	.set _ZL22dequantize_block_iq2_sIfEvPKvPT_.has_dyn_sized_stack, 0
	.set _ZL22dequantize_block_iq2_sIfEvPKvPT_.has_recursion, 0
	.set _ZL22dequantize_block_iq2_sIfEvPKvPT_.has_indirect_call, 0
	.section	.AMDGPU.csdata,"",@progbits
; Kernel info:
; codeLenInByte = 592
; TotalNumSgprs: 10
; NumVgprs: 22
; ScratchSize: 0
; MemoryBound: 0
; FloatMode: 240
; IeeeMode: 1
; LDSByteSize: 0 bytes/workgroup (compile time only)
; SGPRBlocks: 0
; VGPRBlocks: 1
; NumSGPRsForWavesPerEU: 10
; NumVGPRsForWavesPerEU: 22
; NamedBarCnt: 0
; Occupancy: 16
; WaveLimiterHint : 0
; COMPUTE_PGM_RSRC2:SCRATCH_EN: 0
; COMPUTE_PGM_RSRC2:USER_SGPR: 2
; COMPUTE_PGM_RSRC2:TRAP_HANDLER: 0
; COMPUTE_PGM_RSRC2:TGID_X_EN: 1
; COMPUTE_PGM_RSRC2:TGID_Y_EN: 0
; COMPUTE_PGM_RSRC2:TGID_Z_EN: 0
; COMPUTE_PGM_RSRC2:TIDIG_COMP_CNT: 0
	.section	.text._ZL24dequantize_block_iq3_xxsIfEvPKvPT_,"axG",@progbits,_ZL24dequantize_block_iq3_xxsIfEvPKvPT_,comdat
	.globl	_ZL24dequantize_block_iq3_xxsIfEvPKvPT_ ; -- Begin function _ZL24dequantize_block_iq3_xxsIfEvPKvPT_
	.p2align	8
	.type	_ZL24dequantize_block_iq3_xxsIfEvPKvPT_,@function
_ZL24dequantize_block_iq3_xxsIfEvPKvPT_: ; @_ZL24dequantize_block_iq3_xxsIfEvPKvPT_
; %bb.0:
	s_load_b128 s[0:3], s[0:1], 0x0
	s_bfe_u32 s4, ttmp6, 0x4000c
	s_and_b32 s6, ttmp6, 15
	s_add_co_i32 s4, s4, 1
	s_getreg_b32 s7, hwreg(HW_REG_IB_STS2, 6, 4)
	s_mul_i32 s4, ttmp9, s4
	v_dual_mov_b32 v5, 0 :: v_dual_bitop2_b32 v1, 7, v0 bitop3:0x40
	s_add_co_i32 s6, s6, s4
	s_cmp_eq_u32 s7, 0
	s_mov_b32 s5, 0
	s_cselect_b32 s4, ttmp9, s6
	v_dual_lshlrev_b32 v4, 7, v1 :: v_dual_lshrrev_b32 v8, 3, v0
	s_lshl_b64 s[6:7], s[4:5], 10
	v_and_b32_e32 v6, 0x3f8, v0
	s_wait_kmcnt 0x0
	s_add_nc_u64 s[2:3], s[2:3], s[6:7]
	s_delay_alu instid0(SALU_CYCLE_1) | instskip(NEXT) | instid1(VALU_DEP_2)
	v_add_nc_u64_e32 v[2:3], s[2:3], v[4:5]
	v_lshlrev_b32_e32 v4, 2, v6
	s_mul_u64 s[2:3], s[4:5], 0x62
	s_delay_alu instid0(SALU_CYCLE_1) | instskip(NEXT) | instid1(VALU_DEP_1)
	s_add_nc_u64 s[0:1], s[0:1], s[2:3]
	v_add_nc_u64_e32 v[2:3], v[2:3], v[4:5]
	v_lshlrev_b32_e32 v4, 3, v1
	s_delay_alu instid0(VALU_DEP_1) | instskip(SKIP_1) | instid1(VALU_DEP_1)
	v_add_nc_u64_e32 v[6:7], s[0:1], v[4:5]
	v_lshlrev_b32_e32 v4, 2, v1
	v_sub_nc_u64_e32 v[0:1], 0, v[4:5]
	v_lshlrev_b32_e32 v4, 1, v8
	s_delay_alu instid0(VALU_DEP_2) | instskip(NEXT) | instid1(VALU_DEP_2)
	v_add_nc_u64_e32 v[0:1], v[6:7], v[0:1]
	v_add_nc_u64_e32 v[6:7], v[6:7], v[4:5]
	s_clause 0x2
	global_load_u16 v4, v5, s[0:1]
	global_load_b32 v9, v[0:1], off offset:66
	global_load_u16 v10, v[6:7], off offset:2
	s_wait_xcnt 0x1
	v_mul_u32_u24_e32 v0, 7, v8
	s_get_pc_i64 s[0:1]
	s_add_nc_u64 s[0:1], s[0:1], _ZL12ksigns_iq2xs@rel64+4
	s_wait_loadcnt 0x2
	v_cvt_f32_f16_e32 v4, v4
	s_wait_loadcnt 0x1
	v_bfe_u32 v1, v9, v0, 7
	s_wait_loadcnt 0x0
	v_lshrrev_b16 v0, 8, v10
	v_and_b32_e32 v6, 0xff, v10
	global_load_u8 v5, v1, s[0:1]
	v_and_b32_e32 v0, 0xffff, v0
	s_wait_xcnt 0x0
	s_get_pc_i64 s[0:1]
	s_add_nc_u64 s[0:1], s[0:1], _ZL11iq3xxs_grid@rel64+4
	s_clause 0x1
	global_load_b32 v10, v0, s[0:1] scale_offset
	global_load_b32 v11, v6, s[0:1] scale_offset
	s_wait_xcnt 0x1
	v_lshrrev_b32_e32 v0, 28, v9
	s_delay_alu instid0(VALU_DEP_1) | instskip(NEXT) | instid1(VALU_DEP_1)
	v_cvt_f32_ubyte0_e32 v0, v0
	v_add_f32_e32 v0, 0.5, v0
	s_wait_loadcnt 0x2
	s_delay_alu instid0(VALU_DEP_1) | instskip(NEXT) | instid1(VALU_DEP_1)
	v_dual_mul_f32 v0, v0, v4 :: v_dual_bitop2_b32 v16, 32, v5 bitop3:0x40
	v_dual_mul_f32 v0, 0.5, v0 :: v_dual_bitop2_b32 v15, 16, v5 bitop3:0x40
	v_bfe_i32 v14, v5, 0, 8
	v_and_b32_e32 v19, 2, v5
	s_wait_loadcnt 0x1
	v_cvt_f32_ubyte0_e32 v12, v10
	v_and_b32_e32 v17, 8, v5
	v_and_b32_e32 v20, 1, v5
	v_cvt_f32_ubyte1_e32 v4, v10
	v_cmp_eq_u16_e32 vcc_lo, 0, v15
	v_dual_mul_f32 v22, v0, v12 :: v_dual_bitop2_b32 v18, 4, v5 bitop3:0x40
	v_cvt_f32_ubyte2_e32 v5, v10
	s_wait_loadcnt 0x0
	v_cvt_f32_ubyte1_e32 v7, v11
	v_cvt_f32_ubyte3_e32 v9, v11
	v_cvt_f32_ubyte2_e32 v8, v11
	v_cvt_f32_ubyte0_e32 v6, v11
	v_cvt_f32_ubyte3_e32 v21, v10
	v_pk_mul_f32 v[10:11], v[0:1], v[4:5] op_sel_hi:[0,1]
	v_cndmask_b32_e64 v4, -v22, v22, vcc_lo
	v_cmp_gt_u32_e32 vcc_lo, 64, v1
	v_pk_mul_f32 v[12:13], v[0:1], v[6:7] op_sel_hi:[0,1]
	v_pk_mul_f32 v[8:9], v[0:1], v[8:9] op_sel_hi:[0,1]
	v_dual_mul_f32 v0, v0, v21 :: v_dual_cndmask_b32 v6, -v11, v11, vcc_lo
	v_cmp_eq_u16_e32 vcc_lo, 0, v16
	v_cndmask_b32_e64 v5, -v10, v10, vcc_lo
	v_cmp_eq_u16_e32 vcc_lo, 0, v17
	v_cndmask_b32_e64 v11, -v9, v9, vcc_lo
	;; [unrolled: 2-line block ×5, first 2 shown]
	v_cmp_gt_i16_e32 vcc_lo, 0, v14
	v_cndmask_b32_e64 v7, v0, -v0, vcc_lo
	s_clause 0x1
	global_store_b128 v[2:3], v[8:11], off
	global_store_b128 v[2:3], v[4:7], off offset:16
	s_endpgm
	.section	.rodata,"a",@progbits
	.p2align	6, 0x0
	.amdhsa_kernel _ZL24dequantize_block_iq3_xxsIfEvPKvPT_
		.amdhsa_group_segment_fixed_size 0
		.amdhsa_private_segment_fixed_size 0
		.amdhsa_kernarg_size 16
		.amdhsa_user_sgpr_count 2
		.amdhsa_user_sgpr_dispatch_ptr 0
		.amdhsa_user_sgpr_queue_ptr 0
		.amdhsa_user_sgpr_kernarg_segment_ptr 1
		.amdhsa_user_sgpr_dispatch_id 0
		.amdhsa_user_sgpr_kernarg_preload_length 0
		.amdhsa_user_sgpr_kernarg_preload_offset 0
		.amdhsa_user_sgpr_private_segment_size 0
		.amdhsa_wavefront_size32 1
		.amdhsa_uses_dynamic_stack 0
		.amdhsa_enable_private_segment 0
		.amdhsa_system_sgpr_workgroup_id_x 1
		.amdhsa_system_sgpr_workgroup_id_y 0
		.amdhsa_system_sgpr_workgroup_id_z 0
		.amdhsa_system_sgpr_workgroup_info 0
		.amdhsa_system_vgpr_workitem_id 0
		.amdhsa_next_free_vgpr 23
		.amdhsa_next_free_sgpr 8
		.amdhsa_named_barrier_count 0
		.amdhsa_reserve_vcc 1
		.amdhsa_float_round_mode_32 0
		.amdhsa_float_round_mode_16_64 0
		.amdhsa_float_denorm_mode_32 3
		.amdhsa_float_denorm_mode_16_64 3
		.amdhsa_fp16_overflow 0
		.amdhsa_memory_ordered 1
		.amdhsa_forward_progress 1
		.amdhsa_inst_pref_size 5
		.amdhsa_round_robin_scheduling 0
		.amdhsa_exception_fp_ieee_invalid_op 0
		.amdhsa_exception_fp_denorm_src 0
		.amdhsa_exception_fp_ieee_div_zero 0
		.amdhsa_exception_fp_ieee_overflow 0
		.amdhsa_exception_fp_ieee_underflow 0
		.amdhsa_exception_fp_ieee_inexact 0
		.amdhsa_exception_int_div_zero 0
	.end_amdhsa_kernel
	.section	.text._ZL24dequantize_block_iq3_xxsIfEvPKvPT_,"axG",@progbits,_ZL24dequantize_block_iq3_xxsIfEvPKvPT_,comdat
.Lfunc_end30:
	.size	_ZL24dequantize_block_iq3_xxsIfEvPKvPT_, .Lfunc_end30-_ZL24dequantize_block_iq3_xxsIfEvPKvPT_
                                        ; -- End function
	.set _ZL24dequantize_block_iq3_xxsIfEvPKvPT_.num_vgpr, 23
	.set _ZL24dequantize_block_iq3_xxsIfEvPKvPT_.num_agpr, 0
	.set _ZL24dequantize_block_iq3_xxsIfEvPKvPT_.numbered_sgpr, 8
	.set _ZL24dequantize_block_iq3_xxsIfEvPKvPT_.num_named_barrier, 0
	.set _ZL24dequantize_block_iq3_xxsIfEvPKvPT_.private_seg_size, 0
	.set _ZL24dequantize_block_iq3_xxsIfEvPKvPT_.uses_vcc, 1
	.set _ZL24dequantize_block_iq3_xxsIfEvPKvPT_.uses_flat_scratch, 0
	.set _ZL24dequantize_block_iq3_xxsIfEvPKvPT_.has_dyn_sized_stack, 0
	.set _ZL24dequantize_block_iq3_xxsIfEvPKvPT_.has_recursion, 0
	.set _ZL24dequantize_block_iq3_xxsIfEvPKvPT_.has_indirect_call, 0
	.section	.AMDGPU.csdata,"",@progbits
; Kernel info:
; codeLenInByte = 612
; TotalNumSgprs: 10
; NumVgprs: 23
; ScratchSize: 0
; MemoryBound: 0
; FloatMode: 240
; IeeeMode: 1
; LDSByteSize: 0 bytes/workgroup (compile time only)
; SGPRBlocks: 0
; VGPRBlocks: 1
; NumSGPRsForWavesPerEU: 10
; NumVGPRsForWavesPerEU: 23
; NamedBarCnt: 0
; Occupancy: 16
; WaveLimiterHint : 0
; COMPUTE_PGM_RSRC2:SCRATCH_EN: 0
; COMPUTE_PGM_RSRC2:USER_SGPR: 2
; COMPUTE_PGM_RSRC2:TRAP_HANDLER: 0
; COMPUTE_PGM_RSRC2:TGID_X_EN: 1
; COMPUTE_PGM_RSRC2:TGID_Y_EN: 0
; COMPUTE_PGM_RSRC2:TGID_Z_EN: 0
; COMPUTE_PGM_RSRC2:TIDIG_COMP_CNT: 0
	.section	.text._ZL22dequantize_block_iq1_sIfEvPKvPT_,"axG",@progbits,_ZL22dequantize_block_iq1_sIfEvPKvPT_,comdat
	.globl	_ZL22dequantize_block_iq1_sIfEvPKvPT_ ; -- Begin function _ZL22dequantize_block_iq1_sIfEvPKvPT_
	.p2align	8
	.type	_ZL22dequantize_block_iq1_sIfEvPKvPT_,@function
_ZL22dequantize_block_iq1_sIfEvPKvPT_:  ; @_ZL22dequantize_block_iq1_sIfEvPKvPT_
; %bb.0:
	s_load_b128 s[0:3], s[0:1], 0x0
	s_bfe_u32 s6, ttmp6, 0x4000c
	s_and_b32 s4, ttmp6, 15
	s_add_co_i32 s6, s6, 1
	s_getreg_b32 s7, hwreg(HW_REG_IB_STS2, 6, 4)
	s_mul_i32 s6, ttmp9, s6
	v_dual_mov_b32 v3, 0 :: v_dual_bitop2_b32 v8, 7, v0 bitop3:0x40
	s_add_co_i32 s4, s4, s6
	s_cmp_eq_u32 s7, 0
	s_mov_b32 s5, 0
	s_cselect_b32 s4, ttmp9, s4
	v_dual_mov_b32 v5, v3 :: v_dual_lshlrev_b32 v4, 1, v8
	s_mul_u64 s[6:7], s[4:5], 50
	v_lshrrev_b32_e32 v2, 3, v0
	s_wait_kmcnt 0x0
	s_add_nc_u64 s[0:1], s[0:1], s[6:7]
	s_get_pc_i64 s[6:7]
	s_add_nc_u64 s[6:7], s[6:7], _ZL13iq1s_grid_gpu@rel64+4
	v_add_nc_u64_e32 v[6:7], s[0:1], v[4:5]
	global_load_u16 v9, v8, s[0:1] offset:34 scale_offset
	v_add_nc_u64_e32 v[4:5], v[6:7], v[4:5]
	s_delay_alu instid0(VALU_DEP_1)
	v_add_nc_u64_e32 v[4:5], v[4:5], v[2:3]
	v_mul_u32_u24_e32 v2, 3, v2
	global_load_u8 v1, v[4:5], off offset:2
	s_wait_loadcnt 0x1
	s_wait_xcnt 0x0
	v_and_b32_e32 v4, 0xffff, v9
	v_lshrrev_b16 v7, 11, v9
	v_cmp_lt_i16_e32 vcc_lo, -1, v9
	s_delay_alu instid0(VALU_DEP_3) | instskip(NEXT) | instid1(VALU_DEP_3)
	v_lshrrev_b32_e32 v2, v2, v4
	v_bitop3_b16 v7, v7, 1, 14 bitop3:0xec
	s_delay_alu instid0(VALU_DEP_2) | instskip(NEXT) | instid1(VALU_DEP_2)
	v_lshlrev_b32_e32 v2, 8, v2
	v_cvt_f32_ubyte0_e32 v14, v7
	s_wait_loadcnt 0x0
	s_delay_alu instid0(VALU_DEP_2)
	v_and_or_b32 v1, 0x700, v2, v1
	v_and_b32_e32 v2, 0x3f8, v0
	v_lshlrev_b32_e32 v0, 7, v8
	global_load_u16 v5, v3, s[0:1]
	global_load_b32 v6, v1, s[6:7] scale_offset
	s_wait_xcnt 0x0
	v_dual_mov_b32 v4, 0xbf600000 :: v_dual_mov_b32 v1, v3
	s_lshl_b64 s[0:1], s[4:5], 10
	v_lshlrev_b32_e32 v2, 2, v2
	s_add_nc_u64 s[0:1], s[2:3], s[0:1]
	s_delay_alu instid0(VALU_DEP_2) | instid1(SALU_CYCLE_1)
	v_add_nc_u64_e32 v[0:1], s[0:1], v[0:1]
	s_delay_alu instid0(VALU_DEP_1)
	v_add_nc_u64_e32 v[16:17], v[0:1], v[2:3]
	s_wait_loadcnt 0x1
	v_cvt_f32_f16_e32 v5, v5
	s_wait_loadcnt 0x0
	v_and_b32_e32 v8, 0xf0f0f0f, v6
	v_bfe_u32 v7, v6, 8, 4
	v_and_b32_e32 v9, 15, v6
	v_bfe_u32 v10, v6, 16, 4
	v_bfe_u32 v11, v6, 12, 4
	;; [unrolled: 1-line block ×3, first 2 shown]
	v_lshrrev_b32_e32 v13, 28, v6
	v_bfe_u32 v15, v6, 20, 4
	v_cndmask_b32_e32 v4, 0xbf900000, v4, vcc_lo
	v_cvt_f32_ubyte0_e32 v7, v7
	v_cvt_f32_ubyte0_e32 v6, v9
	v_cvt_f32_ubyte3_e32 v9, v8
	v_cvt_f32_ubyte0_e32 v8, v10
	v_cvt_f32_ubyte0_e32 v11, v11
	;; [unrolled: 1-line block ×5, first 2 shown]
	v_mul_f32_e32 v14, v5, v14
	v_pk_add_f32 v[6:7], v[4:5], v[6:7] op_sel_hi:[0,1]
	v_pk_add_f32 v[8:9], v[4:5], v[8:9] op_sel_hi:[0,1]
	;; [unrolled: 1-line block ×4, first 2 shown]
	s_delay_alu instid0(VALU_DEP_4) | instskip(NEXT) | instid1(VALU_DEP_4)
	v_pk_mul_f32 v[0:1], v[14:15], v[6:7] op_sel_hi:[0,1]
	v_pk_mul_f32 v[2:3], v[14:15], v[8:9] op_sel_hi:[0,1]
	s_delay_alu instid0(VALU_DEP_4) | instskip(NEXT) | instid1(VALU_DEP_4)
	v_pk_mul_f32 v[4:5], v[14:15], v[10:11] op_sel_hi:[0,1]
	v_pk_mul_f32 v[6:7], v[14:15], v[12:13] op_sel_hi:[0,1]
	s_clause 0x1
	global_store_b128 v[16:17], v[0:3], off
	global_store_b128 v[16:17], v[4:7], off offset:16
	s_endpgm
	.section	.rodata,"a",@progbits
	.p2align	6, 0x0
	.amdhsa_kernel _ZL22dequantize_block_iq1_sIfEvPKvPT_
		.amdhsa_group_segment_fixed_size 0
		.amdhsa_private_segment_fixed_size 0
		.amdhsa_kernarg_size 16
		.amdhsa_user_sgpr_count 2
		.amdhsa_user_sgpr_dispatch_ptr 0
		.amdhsa_user_sgpr_queue_ptr 0
		.amdhsa_user_sgpr_kernarg_segment_ptr 1
		.amdhsa_user_sgpr_dispatch_id 0
		.amdhsa_user_sgpr_kernarg_preload_length 0
		.amdhsa_user_sgpr_kernarg_preload_offset 0
		.amdhsa_user_sgpr_private_segment_size 0
		.amdhsa_wavefront_size32 1
		.amdhsa_uses_dynamic_stack 0
		.amdhsa_enable_private_segment 0
		.amdhsa_system_sgpr_workgroup_id_x 1
		.amdhsa_system_sgpr_workgroup_id_y 0
		.amdhsa_system_sgpr_workgroup_id_z 0
		.amdhsa_system_sgpr_workgroup_info 0
		.amdhsa_system_vgpr_workitem_id 0
		.amdhsa_next_free_vgpr 18
		.amdhsa_next_free_sgpr 8
		.amdhsa_named_barrier_count 0
		.amdhsa_reserve_vcc 1
		.amdhsa_float_round_mode_32 0
		.amdhsa_float_round_mode_16_64 0
		.amdhsa_float_denorm_mode_32 3
		.amdhsa_float_denorm_mode_16_64 3
		.amdhsa_fp16_overflow 0
		.amdhsa_memory_ordered 1
		.amdhsa_forward_progress 1
		.amdhsa_inst_pref_size 5
		.amdhsa_round_robin_scheduling 0
		.amdhsa_exception_fp_ieee_invalid_op 0
		.amdhsa_exception_fp_denorm_src 0
		.amdhsa_exception_fp_ieee_div_zero 0
		.amdhsa_exception_fp_ieee_overflow 0
		.amdhsa_exception_fp_ieee_underflow 0
		.amdhsa_exception_fp_ieee_inexact 0
		.amdhsa_exception_int_div_zero 0
	.end_amdhsa_kernel
	.section	.text._ZL22dequantize_block_iq1_sIfEvPKvPT_,"axG",@progbits,_ZL22dequantize_block_iq1_sIfEvPKvPT_,comdat
.Lfunc_end31:
	.size	_ZL22dequantize_block_iq1_sIfEvPKvPT_, .Lfunc_end31-_ZL22dequantize_block_iq1_sIfEvPKvPT_
                                        ; -- End function
	.set _ZL22dequantize_block_iq1_sIfEvPKvPT_.num_vgpr, 18
	.set _ZL22dequantize_block_iq1_sIfEvPKvPT_.num_agpr, 0
	.set _ZL22dequantize_block_iq1_sIfEvPKvPT_.numbered_sgpr, 8
	.set _ZL22dequantize_block_iq1_sIfEvPKvPT_.num_named_barrier, 0
	.set _ZL22dequantize_block_iq1_sIfEvPKvPT_.private_seg_size, 0
	.set _ZL22dequantize_block_iq1_sIfEvPKvPT_.uses_vcc, 1
	.set _ZL22dequantize_block_iq1_sIfEvPKvPT_.uses_flat_scratch, 0
	.set _ZL22dequantize_block_iq1_sIfEvPKvPT_.has_dyn_sized_stack, 0
	.set _ZL22dequantize_block_iq1_sIfEvPKvPT_.has_recursion, 0
	.set _ZL22dequantize_block_iq1_sIfEvPKvPT_.has_indirect_call, 0
	.section	.AMDGPU.csdata,"",@progbits
; Kernel info:
; codeLenInByte = 516
; TotalNumSgprs: 10
; NumVgprs: 18
; ScratchSize: 0
; MemoryBound: 0
; FloatMode: 240
; IeeeMode: 1
; LDSByteSize: 0 bytes/workgroup (compile time only)
; SGPRBlocks: 0
; VGPRBlocks: 1
; NumSGPRsForWavesPerEU: 10
; NumVGPRsForWavesPerEU: 18
; NamedBarCnt: 0
; Occupancy: 16
; WaveLimiterHint : 0
; COMPUTE_PGM_RSRC2:SCRATCH_EN: 0
; COMPUTE_PGM_RSRC2:USER_SGPR: 2
; COMPUTE_PGM_RSRC2:TRAP_HANDLER: 0
; COMPUTE_PGM_RSRC2:TGID_X_EN: 1
; COMPUTE_PGM_RSRC2:TGID_Y_EN: 0
; COMPUTE_PGM_RSRC2:TGID_Z_EN: 0
; COMPUTE_PGM_RSRC2:TIDIG_COMP_CNT: 0
	.section	.text._ZL22dequantize_block_iq1_mIfEvPKvPT_,"axG",@progbits,_ZL22dequantize_block_iq1_mIfEvPKvPT_,comdat
	.globl	_ZL22dequantize_block_iq1_mIfEvPKvPT_ ; -- Begin function _ZL22dequantize_block_iq1_mIfEvPKvPT_
	.p2align	8
	.type	_ZL22dequantize_block_iq1_mIfEvPKvPT_,@function
_ZL22dequantize_block_iq1_mIfEvPKvPT_:  ; @_ZL22dequantize_block_iq1_mIfEvPKvPT_
; %bb.0:
	s_load_b128 s[0:3], s[0:1], 0x0
	s_bfe_u32 s6, ttmp6, 0x4000c
	s_and_b32 s4, ttmp6, 15
	s_add_co_i32 s6, s6, 1
	s_getreg_b32 s7, hwreg(HW_REG_IB_STS2, 6, 4)
	s_mul_i32 s6, ttmp9, s6
	v_dual_mov_b32 v3, 0 :: v_dual_bitop2_b32 v8, 7, v0 bitop3:0x40
	s_add_co_i32 s4, s4, s6
	s_cmp_eq_u32 s7, 0
	s_mov_b32 s5, 0
	s_cselect_b32 s4, ttmp9, s4
	v_dual_mov_b32 v5, v3 :: v_dual_lshlrev_b32 v4, 2, v8
	s_mul_u64 s[6:7], s[4:5], 56
	v_dual_lshrrev_b32 v2, 3, v0 :: v_dual_lshrrev_b32 v1, 4, v0
	v_dual_mov_b32 v7, v3 :: v_dual_lshlrev_b32 v6, 1, v8
	v_and_b32_e32 v12, 0x3f8, v0
	s_wait_kmcnt 0x0
	s_add_nc_u64 s[0:1], s[0:1], s[6:7]
	v_mov_b32_e32 v11, 0xbf600000
	v_add_nc_u64_e32 v[4:5], s[0:1], v[4:5]
	s_delay_alu instid0(VALU_DEP_1) | instskip(SKIP_2) | instid1(VALU_DEP_1)
	v_add_nc_u64_e32 v[4:5], v[4:5], v[2:3]
	v_add_nc_u32_e32 v2, v6, v1
	v_add_nc_u16 v1, v6, v1
	v_lshrrev_b16 v1, 1, v1
	s_delay_alu instid0(VALU_DEP_1)
	v_and_b32_e32 v6, 62, v1
	s_clause 0x2
	global_load_u8 v9, v[4:5], off
	global_load_u8 v10, v2, s[0:1] offset:32
	global_load_b64 v[4:5], v3, s[0:1] offset:48
	s_wait_xcnt 0x1
	v_dual_lshrrev_b32 v1, 1, v0 :: v_dual_bitop2_b32 v2, 3, v2 bitop3:0x40
	v_add_nc_u64_e32 v[6:7], s[0:1], v[6:7]
	v_lshlrev_b32_e32 v0, 7, v8
	s_delay_alu instid0(VALU_DEP_3)
	v_mul_u32_u24_e32 v2, 3, v2
	global_load_u16 v6, v[6:7], off offset:48
	s_wait_xcnt 0x1
	s_get_pc_i64 s[0:1]
	s_add_nc_u64 s[0:1], s[0:1], _ZL13iq1s_grid_gpu@rel64+4
	s_wait_loadcnt 0x1
	v_pk_lshrrev_b16 v4, 0x8000c, v4
	v_and_b32_e32 v1, 4, v1
	v_pk_lshrrev_b16 v5, 4, v5
	s_wait_xcnt 0x0
	s_delay_alu instid0(VALU_DEP_2) | instskip(NEXT) | instid1(VALU_DEP_2)
	v_dual_lshrrev_b32 v7, v1, v10 :: v_dual_lshrrev_b32 v10, 16, v4
	v_and_b32_e32 v5, 0xf0000f00, v5
	s_wait_loadcnt 0x0
	s_delay_alu instid0(VALU_DEP_2) | instskip(NEXT) | instid1(VALU_DEP_3)
	v_dual_lshrrev_b32 v6, v2, v6 :: v_dual_lshlrev_b32 v1, 8, v7
	v_and_b32_e32 v10, 0xf0, v10
	s_delay_alu instid0(VALU_DEP_3) | instskip(NEXT) | instid1(VALU_DEP_3)
	v_dual_lshlrev_b32 v2, 2, v12 :: v_dual_lshrrev_b32 v8, 16, v5
	v_lshlrev_b32_e32 v6, 1, v6
	s_delay_alu instid0(VALU_DEP_4) | instskip(NEXT) | instid1(VALU_DEP_4)
	v_and_or_b32 v1, 0x700, v1, v9
	v_or_b32_e32 v4, v10, v4
	s_delay_alu instid0(VALU_DEP_3)
	v_and_or_b32 v6, v6, 14, 1
	global_load_b32 v9, v1, s[0:1] scale_offset
	s_wait_xcnt 0x0
	v_dual_mov_b32 v1, v3 :: v_dual_bitop2_b32 v4, v4, v5 bitop3:0x54
	v_and_b32_e32 v5, 8, v7
	s_lshl_b64 s[0:1], s[4:5], 10
	s_delay_alu instid0(SALU_CYCLE_1) | instskip(NEXT) | instid1(VALU_DEP_2)
	s_add_nc_u64 s[0:1], s[2:3], s[0:1]
	v_or_b32_e32 v7, v4, v8
	v_add_nc_u64_e32 v[0:1], s[0:1], v[0:1]
	s_delay_alu instid0(VALU_DEP_2)
	v_cvt_f32_f16_e32 v14, v7
	s_wait_loadcnt 0x0
	v_lshrrev_b32_e32 v15, 28, v9
	v_cmp_eq_u32_e32 vcc_lo, 0, v5
	v_cvt_f32_ubyte0_e32 v5, v6
	v_and_b32_e32 v8, 0xf0f0f0f, v9
	v_bfe_u32 v6, v9, 8, 4
	v_and_b32_e32 v10, 15, v9
	v_cndmask_b32_e32 v4, 0xbf900000, v11, vcc_lo
	v_bfe_u32 v11, v9, 16, 4
	v_bfe_u32 v12, v9, 12, 4
	;; [unrolled: 1-line block ×4, first 2 shown]
	v_cvt_f32_ubyte0_e32 v7, v6
	v_cvt_f32_ubyte0_e32 v6, v10
	v_cvt_f32_ubyte3_e32 v9, v8
	v_cvt_f32_ubyte0_e32 v8, v11
	v_cvt_f32_ubyte0_e32 v11, v12
	v_cvt_f32_ubyte0_e32 v10, v13
	v_cvt_f32_ubyte0_e32 v13, v15
	v_cvt_f32_ubyte0_e32 v12, v16
	v_mul_f32_e32 v14, v14, v5
	v_pk_add_f32 v[6:7], v[4:5], v[6:7] op_sel_hi:[0,1]
	v_pk_add_f32 v[8:9], v[4:5], v[8:9] op_sel_hi:[0,1]
	;; [unrolled: 1-line block ×4, first 2 shown]
	v_add_nc_u64_e32 v[16:17], v[0:1], v[2:3]
	v_pk_mul_f32 v[0:1], v[14:15], v[6:7] op_sel_hi:[0,1]
	v_pk_mul_f32 v[2:3], v[14:15], v[8:9] op_sel_hi:[0,1]
	;; [unrolled: 1-line block ×4, first 2 shown]
	s_clause 0x1
	global_store_b128 v[16:17], v[0:3], off
	global_store_b128 v[16:17], v[4:7], off offset:16
	s_endpgm
	.section	.rodata,"a",@progbits
	.p2align	6, 0x0
	.amdhsa_kernel _ZL22dequantize_block_iq1_mIfEvPKvPT_
		.amdhsa_group_segment_fixed_size 0
		.amdhsa_private_segment_fixed_size 0
		.amdhsa_kernarg_size 16
		.amdhsa_user_sgpr_count 2
		.amdhsa_user_sgpr_dispatch_ptr 0
		.amdhsa_user_sgpr_queue_ptr 0
		.amdhsa_user_sgpr_kernarg_segment_ptr 1
		.amdhsa_user_sgpr_dispatch_id 0
		.amdhsa_user_sgpr_kernarg_preload_length 0
		.amdhsa_user_sgpr_kernarg_preload_offset 0
		.amdhsa_user_sgpr_private_segment_size 0
		.amdhsa_wavefront_size32 1
		.amdhsa_uses_dynamic_stack 0
		.amdhsa_enable_private_segment 0
		.amdhsa_system_sgpr_workgroup_id_x 1
		.amdhsa_system_sgpr_workgroup_id_y 0
		.amdhsa_system_sgpr_workgroup_id_z 0
		.amdhsa_system_sgpr_workgroup_info 0
		.amdhsa_system_vgpr_workitem_id 0
		.amdhsa_next_free_vgpr 18
		.amdhsa_next_free_sgpr 8
		.amdhsa_named_barrier_count 0
		.amdhsa_reserve_vcc 1
		.amdhsa_float_round_mode_32 0
		.amdhsa_float_round_mode_16_64 0
		.amdhsa_float_denorm_mode_32 3
		.amdhsa_float_denorm_mode_16_64 3
		.amdhsa_fp16_overflow 0
		.amdhsa_memory_ordered 1
		.amdhsa_forward_progress 1
		.amdhsa_inst_pref_size 6
		.amdhsa_round_robin_scheduling 0
		.amdhsa_exception_fp_ieee_invalid_op 0
		.amdhsa_exception_fp_denorm_src 0
		.amdhsa_exception_fp_ieee_div_zero 0
		.amdhsa_exception_fp_ieee_overflow 0
		.amdhsa_exception_fp_ieee_underflow 0
		.amdhsa_exception_fp_ieee_inexact 0
		.amdhsa_exception_int_div_zero 0
	.end_amdhsa_kernel
	.section	.text._ZL22dequantize_block_iq1_mIfEvPKvPT_,"axG",@progbits,_ZL22dequantize_block_iq1_mIfEvPKvPT_,comdat
.Lfunc_end32:
	.size	_ZL22dequantize_block_iq1_mIfEvPKvPT_, .Lfunc_end32-_ZL22dequantize_block_iq1_mIfEvPKvPT_
                                        ; -- End function
	.set _ZL22dequantize_block_iq1_mIfEvPKvPT_.num_vgpr, 18
	.set _ZL22dequantize_block_iq1_mIfEvPKvPT_.num_agpr, 0
	.set _ZL22dequantize_block_iq1_mIfEvPKvPT_.numbered_sgpr, 8
	.set _ZL22dequantize_block_iq1_mIfEvPKvPT_.num_named_barrier, 0
	.set _ZL22dequantize_block_iq1_mIfEvPKvPT_.private_seg_size, 0
	.set _ZL22dequantize_block_iq1_mIfEvPKvPT_.uses_vcc, 1
	.set _ZL22dequantize_block_iq1_mIfEvPKvPT_.uses_flat_scratch, 0
	.set _ZL22dequantize_block_iq1_mIfEvPKvPT_.has_dyn_sized_stack, 0
	.set _ZL22dequantize_block_iq1_mIfEvPKvPT_.has_recursion, 0
	.set _ZL22dequantize_block_iq1_mIfEvPKvPT_.has_indirect_call, 0
	.section	.AMDGPU.csdata,"",@progbits
; Kernel info:
; codeLenInByte = 668
; TotalNumSgprs: 10
; NumVgprs: 18
; ScratchSize: 0
; MemoryBound: 0
; FloatMode: 240
; IeeeMode: 1
; LDSByteSize: 0 bytes/workgroup (compile time only)
; SGPRBlocks: 0
; VGPRBlocks: 1
; NumSGPRsForWavesPerEU: 10
; NumVGPRsForWavesPerEU: 18
; NamedBarCnt: 0
; Occupancy: 16
; WaveLimiterHint : 0
; COMPUTE_PGM_RSRC2:SCRATCH_EN: 0
; COMPUTE_PGM_RSRC2:USER_SGPR: 2
; COMPUTE_PGM_RSRC2:TRAP_HANDLER: 0
; COMPUTE_PGM_RSRC2:TGID_X_EN: 1
; COMPUTE_PGM_RSRC2:TGID_Y_EN: 0
; COMPUTE_PGM_RSRC2:TGID_Z_EN: 0
; COMPUTE_PGM_RSRC2:TIDIG_COMP_CNT: 0
	.section	.text._ZL23dequantize_block_iq4_nlIfEvPKvPT_,"axG",@progbits,_ZL23dequantize_block_iq4_nlIfEvPKvPT_,comdat
	.globl	_ZL23dequantize_block_iq4_nlIfEvPKvPT_ ; -- Begin function _ZL23dequantize_block_iq4_nlIfEvPKvPT_
	.p2align	8
	.type	_ZL23dequantize_block_iq4_nlIfEvPKvPT_,@function
_ZL23dequantize_block_iq4_nlIfEvPKvPT_: ; @_ZL23dequantize_block_iq4_nlIfEvPKvPT_
; %bb.0:
	s_load_b128 s[0:3], s[0:1], 0x0
	s_bfe_u32 s4, ttmp6, 0x4000c
	s_and_b32 s6, ttmp6, 15
	s_add_co_i32 s4, s4, 1
	s_getreg_b32 s7, hwreg(HW_REG_IB_STS2, 6, 4)
	s_mul_i32 s4, ttmp9, s4
	s_mov_b32 s5, 0
	s_add_co_i32 s6, s6, s4
	s_cmp_eq_u32 s7, 0
	v_dual_mov_b32 v1, 0 :: v_dual_bitop2_b32 v2, 7, v0 bitop3:0x40
	s_cselect_b32 s4, ttmp9, s6
	v_lshrrev_b32_e32 v6, 1, v0
	s_mul_u64 s[6:7], s[4:5], 0x90
	s_delay_alu instid0(VALU_DEP_2) | instskip(SKIP_2) | instid1(SALU_CYCLE_1)
	v_lshlrev_b32_e32 v0, 7, v2
	s_wait_kmcnt 0x0
	s_add_nc_u64 s[0:1], s[0:1], s[6:7]
	v_mad_nc_u64_u32 v[2:3], v2, 18, s[0:1]
	s_lshl_b64 s[0:1], s[4:5], 10
	s_delay_alu instid0(SALU_CYCLE_1) | instskip(NEXT) | instid1(SALU_CYCLE_1)
	s_add_nc_u64 s[0:1], s[2:3], s[0:1]
	v_add_nc_u64_e32 v[4:5], s[0:1], v[0:1]
	v_and_b32_e32 v0, 0x1fc, v6
	s_get_pc_i64 s[0:1]
	s_add_nc_u64 s[0:1], s[0:1], _ZL13kvalues_iq4nl@rel64+4
	s_delay_alu instid0(VALU_DEP_1)
	v_add_nc_u64_e32 v[6:7], v[2:3], v[0:1]
	v_lshlrev_b32_e32 v0, 2, v0
	s_clause 0x1
	global_load_b32 v8, v[6:7], off offset:2
	global_load_u16 v9, v[2:3], off
	s_wait_loadcnt 0x1
	s_wait_xcnt 0x1
	v_bfe_u32 v6, v8, 8, 4
	s_wait_xcnt 0x0
	v_and_b32_e32 v2, 15, v8
	v_bfe_u32 v11, v8, 24, 4
	v_bfe_u32 v10, v8, 16, 4
	;; [unrolled: 1-line block ×5, first 2 shown]
	v_lshrrev_b32_e32 v8, 28, v8
	s_clause 0x7
	global_load_i8 v13, v6, s[0:1]
	global_load_i8 v14, v2, s[0:1]
	;; [unrolled: 1-line block ×8, first 2 shown]
	s_wait_loadcnt 0x8
	s_wait_xcnt 0x2
	v_cvt_f32_f16_e32 v8, v9
	s_wait_loadcnt 0x7
	v_cvt_f32_i32_e32 v7, v13
	s_wait_loadcnt 0x6
	v_cvt_f32_i32_e32 v6, v14
	s_wait_loadcnt 0x5
	s_wait_xcnt 0x0
	v_cvt_f32_i32_e32 v3, v15
	s_wait_loadcnt 0x4
	v_cvt_f32_i32_e32 v2, v16
	s_wait_loadcnt 0x3
	v_cvt_f32_i32_e32 v11, v17
	s_wait_loadcnt 0x2
	v_cvt_f32_i32_e32 v13, v18
	s_wait_loadcnt 0x1
	v_cvt_f32_i32_e32 v12, v19
	s_wait_loadcnt 0x0
	v_cvt_f32_i32_e32 v10, v20
	v_add_nc_u64_e32 v[14:15], v[4:5], v[0:1]
	v_pk_mul_f32 v[2:3], v[8:9], v[2:3] op_sel_hi:[0,1]
	v_pk_mul_f32 v[0:1], v[8:9], v[6:7] op_sel_hi:[0,1]
	;; [unrolled: 1-line block ×4, first 2 shown]
	s_clause 0x1
	global_store_b128 v[14:15], v[0:3], off
	global_store_b128 v[14:15], v[4:7], off offset:64
	s_endpgm
	.section	.rodata,"a",@progbits
	.p2align	6, 0x0
	.amdhsa_kernel _ZL23dequantize_block_iq4_nlIfEvPKvPT_
		.amdhsa_group_segment_fixed_size 0
		.amdhsa_private_segment_fixed_size 0
		.amdhsa_kernarg_size 16
		.amdhsa_user_sgpr_count 2
		.amdhsa_user_sgpr_dispatch_ptr 0
		.amdhsa_user_sgpr_queue_ptr 0
		.amdhsa_user_sgpr_kernarg_segment_ptr 1
		.amdhsa_user_sgpr_dispatch_id 0
		.amdhsa_user_sgpr_kernarg_preload_length 0
		.amdhsa_user_sgpr_kernarg_preload_offset 0
		.amdhsa_user_sgpr_private_segment_size 0
		.amdhsa_wavefront_size32 1
		.amdhsa_uses_dynamic_stack 0
		.amdhsa_enable_private_segment 0
		.amdhsa_system_sgpr_workgroup_id_x 1
		.amdhsa_system_sgpr_workgroup_id_y 0
		.amdhsa_system_sgpr_workgroup_id_z 0
		.amdhsa_system_sgpr_workgroup_info 0
		.amdhsa_system_vgpr_workitem_id 0
		.amdhsa_next_free_vgpr 21
		.amdhsa_next_free_sgpr 8
		.amdhsa_named_barrier_count 0
		.amdhsa_reserve_vcc 0
		.amdhsa_float_round_mode_32 0
		.amdhsa_float_round_mode_16_64 0
		.amdhsa_float_denorm_mode_32 3
		.amdhsa_float_denorm_mode_16_64 3
		.amdhsa_fp16_overflow 0
		.amdhsa_memory_ordered 1
		.amdhsa_forward_progress 1
		.amdhsa_inst_pref_size 4
		.amdhsa_round_robin_scheduling 0
		.amdhsa_exception_fp_ieee_invalid_op 0
		.amdhsa_exception_fp_denorm_src 0
		.amdhsa_exception_fp_ieee_div_zero 0
		.amdhsa_exception_fp_ieee_overflow 0
		.amdhsa_exception_fp_ieee_underflow 0
		.amdhsa_exception_fp_ieee_inexact 0
		.amdhsa_exception_int_div_zero 0
	.end_amdhsa_kernel
	.section	.text._ZL23dequantize_block_iq4_nlIfEvPKvPT_,"axG",@progbits,_ZL23dequantize_block_iq4_nlIfEvPKvPT_,comdat
.Lfunc_end33:
	.size	_ZL23dequantize_block_iq4_nlIfEvPKvPT_, .Lfunc_end33-_ZL23dequantize_block_iq4_nlIfEvPKvPT_
                                        ; -- End function
	.set _ZL23dequantize_block_iq4_nlIfEvPKvPT_.num_vgpr, 21
	.set _ZL23dequantize_block_iq4_nlIfEvPKvPT_.num_agpr, 0
	.set _ZL23dequantize_block_iq4_nlIfEvPKvPT_.numbered_sgpr, 8
	.set _ZL23dequantize_block_iq4_nlIfEvPKvPT_.num_named_barrier, 0
	.set _ZL23dequantize_block_iq4_nlIfEvPKvPT_.private_seg_size, 0
	.set _ZL23dequantize_block_iq4_nlIfEvPKvPT_.uses_vcc, 0
	.set _ZL23dequantize_block_iq4_nlIfEvPKvPT_.uses_flat_scratch, 0
	.set _ZL23dequantize_block_iq4_nlIfEvPKvPT_.has_dyn_sized_stack, 0
	.set _ZL23dequantize_block_iq4_nlIfEvPKvPT_.has_recursion, 0
	.set _ZL23dequantize_block_iq4_nlIfEvPKvPT_.has_indirect_call, 0
	.section	.AMDGPU.csdata,"",@progbits
; Kernel info:
; codeLenInByte = 492
; TotalNumSgprs: 8
; NumVgprs: 21
; ScratchSize: 0
; MemoryBound: 0
; FloatMode: 240
; IeeeMode: 1
; LDSByteSize: 0 bytes/workgroup (compile time only)
; SGPRBlocks: 0
; VGPRBlocks: 1
; NumSGPRsForWavesPerEU: 8
; NumVGPRsForWavesPerEU: 21
; NamedBarCnt: 0
; Occupancy: 16
; WaveLimiterHint : 0
; COMPUTE_PGM_RSRC2:SCRATCH_EN: 0
; COMPUTE_PGM_RSRC2:USER_SGPR: 2
; COMPUTE_PGM_RSRC2:TRAP_HANDLER: 0
; COMPUTE_PGM_RSRC2:TGID_X_EN: 1
; COMPUTE_PGM_RSRC2:TGID_Y_EN: 0
; COMPUTE_PGM_RSRC2:TGID_Z_EN: 0
; COMPUTE_PGM_RSRC2:TIDIG_COMP_CNT: 0
	.section	.text._ZL23dequantize_block_iq4_xsIfEvPKvPT_,"axG",@progbits,_ZL23dequantize_block_iq4_xsIfEvPKvPT_,comdat
	.globl	_ZL23dequantize_block_iq4_xsIfEvPKvPT_ ; -- Begin function _ZL23dequantize_block_iq4_xsIfEvPKvPT_
	.p2align	8
	.type	_ZL23dequantize_block_iq4_xsIfEvPKvPT_,@function
_ZL23dequantize_block_iq4_xsIfEvPKvPT_: ; @_ZL23dequantize_block_iq4_xsIfEvPKvPT_
; %bb.0:
	s_load_b128 s[0:3], s[0:1], 0x0
	s_bfe_u32 s6, ttmp6, 0x4000c
	s_and_b32 s4, ttmp6, 15
	s_add_co_i32 s6, s6, 1
	s_getreg_b32 s7, hwreg(HW_REG_IB_STS2, 6, 4)
	s_mul_i32 s6, ttmp9, s6
	v_dual_mov_b32 v3, 0 :: v_dual_bitop2_b32 v1, 7, v0 bitop3:0x40
	s_add_co_i32 s4, s4, s6
	s_cmp_eq_u32 s7, 0
	s_mov_b32 s5, 0
	s_cselect_b32 s4, ttmp9, s4
	v_dual_mov_b32 v5, v3 :: v_dual_lshrrev_b32 v8, 1, v0
	v_dual_lshlrev_b32 v2, 7, v1 :: v_dual_lshlrev_b32 v4, 4, v1
	s_mul_u64 s[6:7], s[4:5], 0x88
	s_lshl_b64 s[4:5], s[4:5], 10
	v_lshlrev_b32_e32 v1, 1, v1
	s_wait_kmcnt 0x0
	s_add_nc_u64 s[0:1], s[0:1], s[6:7]
	s_add_nc_u64 s[2:3], s[2:3], s[4:5]
	v_add_nc_u64_e32 v[4:5], s[0:1], v[4:5]
	v_add_nc_u64_e32 v[6:7], s[2:3], v[2:3]
	v_and_b32_e32 v2, 0x1fc, v8
	s_delay_alu instid0(VALU_DEP_1)
	v_add_nc_u64_e32 v[4:5], v[4:5], v[2:3]
	s_clause 0x1
	global_load_b32 v8, v[4:5], off offset:8
	global_load_b32 v9, v3, s[0:1]
	s_wait_xcnt 0x1
	v_bfe_u32 v4, v0, 1, 2
	v_dual_lshlrev_b32 v0, 2, v0 :: v_dual_lshlrev_b32 v2, 2, v2
	global_load_u8 v4, v4, s[0:1] offset:4
	s_wait_xcnt 0x0
	s_get_pc_i64 s[0:1]
	s_add_nc_u64 s[0:1], s[0:1], _ZL13kvalues_iq4nl@rel64+4
	v_and_b32_e32 v0, 4, v0
	s_wait_loadcnt 0x2
	v_bfe_u32 v11, v8, 8, 4
	v_and_b32_e32 v5, 15, v8
	v_bfe_u32 v14, v8, 24, 4
	v_bfe_u32 v13, v8, 16, 4
	;; [unrolled: 1-line block ×5, first 2 shown]
	v_lshrrev_b32_e32 v8, 28, v8
	s_clause 0x7
	global_load_i8 v16, v11, s[0:1]
	global_load_i8 v17, v5, s[0:1]
	;; [unrolled: 1-line block ×8, first 2 shown]
	s_wait_loadcnt 0x9
	s_wait_xcnt 0x6
	v_lshrrev_b32_e32 v5, 16, v9
	s_wait_loadcnt 0x8
	v_bfe_u32 v0, v4, v0, 4
	s_wait_xcnt 0x1
	v_add_nc_u64_e32 v[14:15], v[6:7], v[2:3]
	v_lshrrev_b32_e32 v1, v1, v5
	s_delay_alu instid0(VALU_DEP_1) | instskip(NEXT) | instid1(VALU_DEP_1)
	v_lshlrev_b32_e32 v1, 4, v1
	v_and_or_b32 v0, v1, 48, v0
	v_cvt_f32_f16_e32 v1, v9
	s_delay_alu instid0(VALU_DEP_2) | instskip(NEXT) | instid1(VALU_DEP_1)
	v_subrev_nc_u32_e32 v0, 32, v0
	v_cvt_f32_i32_e32 v0, v0
	s_delay_alu instid0(VALU_DEP_1)
	v_mul_f32_e32 v4, v1, v0
	s_wait_loadcnt 0x7
	v_cvt_f32_i32_e32 v1, v16
	s_wait_loadcnt 0x6
	v_cvt_f32_i32_e32 v0, v17
	s_wait_loadcnt 0x5
	v_cvt_f32_i32_e32 v9, v18
	s_wait_loadcnt 0x4
	v_cvt_f32_i32_e32 v8, v19
	s_wait_loadcnt 0x3
	v_cvt_f32_i32_e32 v11, v20
	s_wait_loadcnt 0x2
	v_cvt_f32_i32_e32 v13, v21
	s_wait_loadcnt 0x1
	v_cvt_f32_i32_e32 v12, v22
	s_wait_loadcnt 0x0
	v_cvt_f32_i32_e32 v10, v23
	v_pk_mul_f32 v[2:3], v[4:5], v[8:9] op_sel_hi:[0,1]
	v_pk_mul_f32 v[0:1], v[4:5], v[0:1] op_sel_hi:[0,1]
	;; [unrolled: 1-line block ×3, first 2 shown]
	s_delay_alu instid0(VALU_DEP_4)
	v_pk_mul_f32 v[4:5], v[4:5], v[10:11] op_sel_hi:[0,1]
	s_clause 0x1
	global_store_b128 v[14:15], v[0:3], off
	global_store_b128 v[14:15], v[4:7], off offset:64
	s_endpgm
	.section	.rodata,"a",@progbits
	.p2align	6, 0x0
	.amdhsa_kernel _ZL23dequantize_block_iq4_xsIfEvPKvPT_
		.amdhsa_group_segment_fixed_size 0
		.amdhsa_private_segment_fixed_size 0
		.amdhsa_kernarg_size 16
		.amdhsa_user_sgpr_count 2
		.amdhsa_user_sgpr_dispatch_ptr 0
		.amdhsa_user_sgpr_queue_ptr 0
		.amdhsa_user_sgpr_kernarg_segment_ptr 1
		.amdhsa_user_sgpr_dispatch_id 0
		.amdhsa_user_sgpr_kernarg_preload_length 0
		.amdhsa_user_sgpr_kernarg_preload_offset 0
		.amdhsa_user_sgpr_private_segment_size 0
		.amdhsa_wavefront_size32 1
		.amdhsa_uses_dynamic_stack 0
		.amdhsa_enable_private_segment 0
		.amdhsa_system_sgpr_workgroup_id_x 1
		.amdhsa_system_sgpr_workgroup_id_y 0
		.amdhsa_system_sgpr_workgroup_id_z 0
		.amdhsa_system_sgpr_workgroup_info 0
		.amdhsa_system_vgpr_workitem_id 0
		.amdhsa_next_free_vgpr 24
		.amdhsa_next_free_sgpr 8
		.amdhsa_named_barrier_count 0
		.amdhsa_reserve_vcc 0
		.amdhsa_float_round_mode_32 0
		.amdhsa_float_round_mode_16_64 0
		.amdhsa_float_denorm_mode_32 3
		.amdhsa_float_denorm_mode_16_64 3
		.amdhsa_fp16_overflow 0
		.amdhsa_memory_ordered 1
		.amdhsa_forward_progress 1
		.amdhsa_inst_pref_size 5
		.amdhsa_round_robin_scheduling 0
		.amdhsa_exception_fp_ieee_invalid_op 0
		.amdhsa_exception_fp_denorm_src 0
		.amdhsa_exception_fp_ieee_div_zero 0
		.amdhsa_exception_fp_ieee_overflow 0
		.amdhsa_exception_fp_ieee_underflow 0
		.amdhsa_exception_fp_ieee_inexact 0
		.amdhsa_exception_int_div_zero 0
	.end_amdhsa_kernel
	.section	.text._ZL23dequantize_block_iq4_xsIfEvPKvPT_,"axG",@progbits,_ZL23dequantize_block_iq4_xsIfEvPKvPT_,comdat
.Lfunc_end34:
	.size	_ZL23dequantize_block_iq4_xsIfEvPKvPT_, .Lfunc_end34-_ZL23dequantize_block_iq4_xsIfEvPKvPT_
                                        ; -- End function
	.set _ZL23dequantize_block_iq4_xsIfEvPKvPT_.num_vgpr, 24
	.set _ZL23dequantize_block_iq4_xsIfEvPKvPT_.num_agpr, 0
	.set _ZL23dequantize_block_iq4_xsIfEvPKvPT_.numbered_sgpr, 8
	.set _ZL23dequantize_block_iq4_xsIfEvPKvPT_.num_named_barrier, 0
	.set _ZL23dequantize_block_iq4_xsIfEvPKvPT_.private_seg_size, 0
	.set _ZL23dequantize_block_iq4_xsIfEvPKvPT_.uses_vcc, 0
	.set _ZL23dequantize_block_iq4_xsIfEvPKvPT_.uses_flat_scratch, 0
	.set _ZL23dequantize_block_iq4_xsIfEvPKvPT_.has_dyn_sized_stack, 0
	.set _ZL23dequantize_block_iq4_xsIfEvPKvPT_.has_recursion, 0
	.set _ZL23dequantize_block_iq4_xsIfEvPKvPT_.has_indirect_call, 0
	.section	.AMDGPU.csdata,"",@progbits
; Kernel info:
; codeLenInByte = 588
; TotalNumSgprs: 8
; NumVgprs: 24
; ScratchSize: 0
; MemoryBound: 0
; FloatMode: 240
; IeeeMode: 1
; LDSByteSize: 0 bytes/workgroup (compile time only)
; SGPRBlocks: 0
; VGPRBlocks: 1
; NumSGPRsForWavesPerEU: 8
; NumVGPRsForWavesPerEU: 24
; NamedBarCnt: 0
; Occupancy: 16
; WaveLimiterHint : 0
; COMPUTE_PGM_RSRC2:SCRATCH_EN: 0
; COMPUTE_PGM_RSRC2:USER_SGPR: 2
; COMPUTE_PGM_RSRC2:TRAP_HANDLER: 0
; COMPUTE_PGM_RSRC2:TGID_X_EN: 1
; COMPUTE_PGM_RSRC2:TGID_Y_EN: 0
; COMPUTE_PGM_RSRC2:TGID_Z_EN: 0
; COMPUTE_PGM_RSRC2:TIDIG_COMP_CNT: 0
	.section	.text._ZL22dequantize_block_iq3_sIfEvPKvPT_,"axG",@progbits,_ZL22dequantize_block_iq3_sIfEvPKvPT_,comdat
	.globl	_ZL22dequantize_block_iq3_sIfEvPKvPT_ ; -- Begin function _ZL22dequantize_block_iq3_sIfEvPKvPT_
	.p2align	8
	.type	_ZL22dequantize_block_iq3_sIfEvPKvPT_,@function
_ZL22dequantize_block_iq3_sIfEvPKvPT_:  ; @_ZL22dequantize_block_iq3_sIfEvPKvPT_
; %bb.0:
	s_load_b128 s[0:3], s[0:1], 0x0
	s_bfe_u32 s6, ttmp6, 0x4000c
	s_and_b32 s4, ttmp6, 15
	s_add_co_i32 s6, s6, 1
	s_getreg_b32 s7, hwreg(HW_REG_IB_STS2, 6, 4)
	s_mul_i32 s6, ttmp9, s6
	v_dual_mov_b32 v3, 0 :: v_dual_bitop2_b32 v4, 7, v0 bitop3:0x40
	s_add_co_i32 s4, s4, s6
	s_cmp_eq_u32 s7, 0
	s_mov_b32 s5, 0
	s_cselect_b32 s4, ttmp9, s4
	v_dual_mov_b32 v7, v3 :: v_dual_lshlrev_b32 v6, 3, v4
	s_mul_u64 s[6:7], s[4:5], 0x6e
	v_dual_mov_b32 v9, v3 :: v_dual_lshrrev_b32 v2, 3, v0
	s_delay_alu instid0(VALU_DEP_1) | instskip(SKIP_2) | instid1(SALU_CYCLE_1)
	v_dual_mov_b32 v5, v3 :: v_dual_lshlrev_b32 v8, 1, v2
	s_wait_kmcnt 0x0
	s_add_nc_u64 s[0:1], s[0:1], s[6:7]
	v_add_nc_u64_e32 v[6:7], s[0:1], v[6:7]
	s_delay_alu instid0(VALU_DEP_1)
	v_add_nc_u64_e32 v[6:7], v[6:7], v[8:9]
	s_clause 0x1
	global_load_u16 v1, v[6:7], off offset:2
	global_load_u8 v9, v4, s[0:1] offset:66
	s_wait_xcnt 0x1
	v_add_nc_u64_e32 v[6:7], s[0:1], v[4:5]
	v_bfe_u32 v5, v0, 1, 2
	s_delay_alu instid0(VALU_DEP_2) | instskip(SKIP_2) | instid1(VALU_DEP_2)
	v_mad_co_u64_u32 v[6:7], null, v4, 3, v[6:7]
	s_wait_xcnt 0x0
	v_lshlrev_b32_e32 v4, 7, v4
	v_add_nc_u64_e32 v[6:7], v[6:7], v[2:3]
	global_load_u8 v2, v5, s[0:1] offset:106
	s_wait_xcnt 0x0
	v_sub_nc_u32_e32 v5, 7, v8
	s_clause 0x1
	global_load_u16 v10, v3, s[0:1]
	global_load_u8 v11, v[6:7], off offset:74
	s_wait_xcnt 0x0
	v_sub_nc_u32_e32 v7, 8, v8
	s_get_pc_i64 s[0:1]
	s_add_nc_u64 s[0:1], s[0:1], _ZL9iq3s_grid@rel64+4
	v_and_b32_e32 v8, 0x3f8, v0
	s_wait_loadcnt 0x4
	v_lshrrev_b16 v6, 8, v1
	s_wait_loadcnt 0x3
	v_dual_lshlrev_b32 v5, v5, v9 :: v_dual_lshlrev_b32 v7, v7, v9
	v_and_b32_e32 v1, 0xff, v1
	s_delay_alu instid0(VALU_DEP_3) | instskip(NEXT) | instid1(VALU_DEP_2)
	v_and_b32_e32 v6, 0xffff, v6
	v_and_or_b32 v1, 0x100, v7, v1
	s_delay_alu instid0(VALU_DEP_2)
	v_and_or_b32 v5, 0x100, v5, v6
	s_clause 0x1
	global_load_b32 v6, v5, s[0:1] scale_offset
	global_load_b32 v7, v1, s[0:1] scale_offset
	s_wait_xcnt 0x0
	v_dual_lshlrev_b32 v1, 2, v0 :: v_dual_mov_b32 v5, v3
	s_lshl_b64 s[0:1], s[4:5], 10
	s_delay_alu instid0(SALU_CYCLE_1) | instskip(NEXT) | instid1(VALU_DEP_1)
	s_add_nc_u64 s[0:1], s[2:3], s[0:1]
	v_and_b32_e32 v1, 4, v1
	s_wait_loadcnt 0x4
	s_delay_alu instid0(VALU_DEP_1)
	v_dual_lshrrev_b32 v9, v1, v2 :: v_dual_lshlrev_b32 v2, 2, v8
	v_add_nc_u64_e32 v[0:1], s[0:1], v[4:5]
	s_wait_loadcnt 0x2
	v_and_b32_e32 v13, 16, v11
	v_bfe_i32 v12, v11, 0, 8
	v_lshlrev_b32_e32 v4, 1, v9
	s_delay_alu instid0(VALU_DEP_3) | instskip(SKIP_1) | instid1(VALU_DEP_3)
	v_cmp_eq_u16_e32 vcc_lo, 0, v13
	v_add_nc_u64_e32 v[8:9], v[0:1], v[2:3]
	v_and_or_b32 v1, v4, 30, 1
	v_cvt_f32_f16_e32 v0, v10
	s_delay_alu instid0(VALU_DEP_2) | instskip(NEXT) | instid1(VALU_DEP_1)
	v_cvt_f32_ubyte0_e32 v1, v1
	v_dual_mul_f32 v0, v0, v1 :: v_dual_bitop2_b32 v14, 32, v11 bitop3:0x40
	v_and_b32_e32 v17, 4, v11
	v_and_b32_e32 v18, 2, v11
	s_wait_loadcnt 0x1
	v_cvt_f32_ubyte0_e32 v1, v6
	v_and_b32_e32 v15, 64, v11
	v_cvt_f32_ubyte1_e32 v10, v6
	v_and_b32_e32 v16, 8, v11
	s_wait_loadcnt 0x0
	v_cvt_f32_ubyte1_e32 v3, v7
	v_cvt_f32_ubyte0_e32 v2, v7
	v_cvt_f32_ubyte3_e32 v5, v7
	v_cvt_f32_ubyte2_e32 v4, v7
	v_dual_mul_f32 v1, v0, v1 :: v_dual_bitop2_b32 v19, 1, v11 bitop3:0x40
	v_cvt_f32_ubyte2_e32 v11, v6
	v_cvt_f32_ubyte3_e32 v6, v6
	v_mul_f32_e32 v7, v0, v10
	s_delay_alu instid0(VALU_DEP_4) | instskip(NEXT) | instid1(VALU_DEP_4)
	v_pk_mul_f32 v[4:5], v[0:1], v[4:5] op_sel_hi:[0,1]
	v_mul_f32_e32 v20, v0, v11
	v_pk_mul_f32 v[10:11], v[0:1], v[2:3] op_sel_hi:[0,1]
	v_dual_mul_f32 v3, v0, v6 :: v_dual_cndmask_b32 v0, -v1, v1, vcc_lo
	v_cmp_eq_u16_e32 vcc_lo, 0, v14
	v_cndmask_b32_e64 v1, -v7, v7, vcc_lo
	v_cmp_eq_u16_e32 vcc_lo, 0, v15
	v_cndmask_b32_e64 v2, -v20, v20, vcc_lo
	;; [unrolled: 2-line block ×6, first 2 shown]
	v_cmp_gt_i16_e32 vcc_lo, 0, v12
	v_cndmask_b32_e64 v3, v3, -v3, vcc_lo
	s_clause 0x1
	global_store_b128 v[8:9], v[4:7], off
	global_store_b128 v[8:9], v[0:3], off offset:16
	s_endpgm
	.section	.rodata,"a",@progbits
	.p2align	6, 0x0
	.amdhsa_kernel _ZL22dequantize_block_iq3_sIfEvPKvPT_
		.amdhsa_group_segment_fixed_size 0
		.amdhsa_private_segment_fixed_size 0
		.amdhsa_kernarg_size 16
		.amdhsa_user_sgpr_count 2
		.amdhsa_user_sgpr_dispatch_ptr 0
		.amdhsa_user_sgpr_queue_ptr 0
		.amdhsa_user_sgpr_kernarg_segment_ptr 1
		.amdhsa_user_sgpr_dispatch_id 0
		.amdhsa_user_sgpr_kernarg_preload_length 0
		.amdhsa_user_sgpr_kernarg_preload_offset 0
		.amdhsa_user_sgpr_private_segment_size 0
		.amdhsa_wavefront_size32 1
		.amdhsa_uses_dynamic_stack 0
		.amdhsa_enable_private_segment 0
		.amdhsa_system_sgpr_workgroup_id_x 1
		.amdhsa_system_sgpr_workgroup_id_y 0
		.amdhsa_system_sgpr_workgroup_id_z 0
		.amdhsa_system_sgpr_workgroup_info 0
		.amdhsa_system_vgpr_workitem_id 0
		.amdhsa_next_free_vgpr 21
		.amdhsa_next_free_sgpr 8
		.amdhsa_named_barrier_count 0
		.amdhsa_reserve_vcc 1
		.amdhsa_float_round_mode_32 0
		.amdhsa_float_round_mode_16_64 0
		.amdhsa_float_denorm_mode_32 3
		.amdhsa_float_denorm_mode_16_64 3
		.amdhsa_fp16_overflow 0
		.amdhsa_memory_ordered 1
		.amdhsa_forward_progress 1
		.amdhsa_inst_pref_size 6
		.amdhsa_round_robin_scheduling 0
		.amdhsa_exception_fp_ieee_invalid_op 0
		.amdhsa_exception_fp_denorm_src 0
		.amdhsa_exception_fp_ieee_div_zero 0
		.amdhsa_exception_fp_ieee_overflow 0
		.amdhsa_exception_fp_ieee_underflow 0
		.amdhsa_exception_fp_ieee_inexact 0
		.amdhsa_exception_int_div_zero 0
	.end_amdhsa_kernel
	.section	.text._ZL22dequantize_block_iq3_sIfEvPKvPT_,"axG",@progbits,_ZL22dequantize_block_iq3_sIfEvPKvPT_,comdat
.Lfunc_end35:
	.size	_ZL22dequantize_block_iq3_sIfEvPKvPT_, .Lfunc_end35-_ZL22dequantize_block_iq3_sIfEvPKvPT_
                                        ; -- End function
	.set _ZL22dequantize_block_iq3_sIfEvPKvPT_.num_vgpr, 21
	.set _ZL22dequantize_block_iq3_sIfEvPKvPT_.num_agpr, 0
	.set _ZL22dequantize_block_iq3_sIfEvPKvPT_.numbered_sgpr, 8
	.set _ZL22dequantize_block_iq3_sIfEvPKvPT_.num_named_barrier, 0
	.set _ZL22dequantize_block_iq3_sIfEvPKvPT_.private_seg_size, 0
	.set _ZL22dequantize_block_iq3_sIfEvPKvPT_.uses_vcc, 1
	.set _ZL22dequantize_block_iq3_sIfEvPKvPT_.uses_flat_scratch, 0
	.set _ZL22dequantize_block_iq3_sIfEvPKvPT_.has_dyn_sized_stack, 0
	.set _ZL22dequantize_block_iq3_sIfEvPKvPT_.has_recursion, 0
	.set _ZL22dequantize_block_iq3_sIfEvPKvPT_.has_indirect_call, 0
	.section	.AMDGPU.csdata,"",@progbits
; Kernel info:
; codeLenInByte = 712
; TotalNumSgprs: 10
; NumVgprs: 21
; ScratchSize: 0
; MemoryBound: 0
; FloatMode: 240
; IeeeMode: 1
; LDSByteSize: 0 bytes/workgroup (compile time only)
; SGPRBlocks: 0
; VGPRBlocks: 1
; NumSGPRsForWavesPerEU: 10
; NumVGPRsForWavesPerEU: 21
; NamedBarCnt: 0
; Occupancy: 16
; WaveLimiterHint : 0
; COMPUTE_PGM_RSRC2:SCRATCH_EN: 0
; COMPUTE_PGM_RSRC2:USER_SGPR: 2
; COMPUTE_PGM_RSRC2:TRAP_HANDLER: 0
; COMPUTE_PGM_RSRC2:TGID_X_EN: 1
; COMPUTE_PGM_RSRC2:TGID_Y_EN: 0
; COMPUTE_PGM_RSRC2:TGID_Z_EN: 0
; COMPUTE_PGM_RSRC2:TIDIG_COMP_CNT: 0
	.section	.text._ZL22dequantize_block_mxfp4IfEvPKvPT_,"axG",@progbits,_ZL22dequantize_block_mxfp4IfEvPKvPT_,comdat
	.globl	_ZL22dequantize_block_mxfp4IfEvPKvPT_ ; -- Begin function _ZL22dequantize_block_mxfp4IfEvPKvPT_
	.p2align	8
	.type	_ZL22dequantize_block_mxfp4IfEvPKvPT_,@function
_ZL22dequantize_block_mxfp4IfEvPKvPT_:  ; @_ZL22dequantize_block_mxfp4IfEvPKvPT_
; %bb.0:
	s_load_b128 s[0:3], s[0:1], 0x0
	s_bfe_u32 s4, ttmp6, 0x4000c
	s_and_b32 s6, ttmp6, 15
	s_add_co_i32 s4, s4, 1
	s_getreg_b32 s7, hwreg(HW_REG_IB_STS2, 6, 4)
	s_mul_i32 s4, ttmp9, s4
	s_mov_b32 s5, 0
	s_add_co_i32 s6, s6, s4
	s_cmp_eq_u32 s7, 0
	v_dual_mov_b32 v1, 0 :: v_dual_bitop2_b32 v2, 7, v0 bitop3:0x40
	s_cselect_b32 s4, ttmp9, s6
	v_lshrrev_b32_e32 v6, 1, v0
	s_mul_u64 s[6:7], s[4:5], 0x88
	s_delay_alu instid0(VALU_DEP_2) | instskip(SKIP_2) | instid1(SALU_CYCLE_1)
	v_lshlrev_b32_e32 v0, 7, v2
	s_wait_kmcnt 0x0
	s_add_nc_u64 s[0:1], s[0:1], s[6:7]
	v_mad_nc_u64_u32 v[2:3], v2, 17, s[0:1]
	s_lshl_b64 s[0:1], s[4:5], 10
	s_delay_alu instid0(SALU_CYCLE_1) | instskip(NEXT) | instid1(SALU_CYCLE_1)
	s_add_nc_u64 s[0:1], s[2:3], s[0:1]
	v_add_nc_u64_e32 v[4:5], s[0:1], v[0:1]
	v_and_b32_e32 v0, 0x1fc, v6
	s_get_pc_i64 s[0:1]
	s_add_nc_u64 s[0:1], s[0:1], _ZL13kvalues_mxfp4@rel64+4
	s_delay_alu instid0(VALU_DEP_1)
	v_add_nc_u64_e32 v[6:7], v[2:3], v[0:1]
	s_clause 0x1
	global_load_b32 v8, v[6:7], off offset:1
	global_load_u8 v9, v[2:3], off
	v_lshlrev_b32_e32 v0, 2, v0
	s_wait_loadcnt 0x1
	s_wait_xcnt 0x1
	v_bfe_u32 v6, v8, 8, 4
	s_wait_xcnt 0x0
	v_and_b32_e32 v2, 15, v8
	v_bfe_u32 v7, v8, 12, 4
	v_bfe_u32 v3, v8, 4, 4
	;; [unrolled: 1-line block ×5, first 2 shown]
	v_lshrrev_b32_e32 v8, 28, v8
	s_clause 0x7
	global_load_i8 v13, v6, s[0:1]
	global_load_i8 v14, v2, s[0:1]
	;; [unrolled: 1-line block ×8, first 2 shown]
	s_wait_loadcnt 0x8
	s_wait_xcnt 0x6
	v_lshlrev_b32_e32 v2, 23, v9
	v_cmp_ne_u32_e32 vcc_lo, 0, v9
	s_delay_alu instid0(VALU_DEP_2)
	v_cndmask_b32_e32 v2, 0x400000, v2, vcc_lo
	s_wait_loadcnt 0x7
	s_wait_xcnt 0x5
	v_cvt_f32_i32_e32 v7, v13
	s_wait_loadcnt 0x6
	v_cvt_f32_i32_e32 v6, v14
	s_wait_loadcnt 0x5
	v_cvt_f32_i32_e32 v9, v15
	s_wait_loadcnt 0x4
	s_wait_xcnt 0x1
	v_cvt_f32_i32_e32 v8, v16
	s_wait_loadcnt 0x3
	s_wait_xcnt 0x0
	v_cvt_f32_i32_e32 v11, v17
	s_wait_loadcnt 0x2
	v_cvt_f32_i32_e32 v10, v18
	s_wait_loadcnt 0x1
	;; [unrolled: 2-line block ×3, first 2 shown]
	v_cvt_f32_i32_e32 v12, v20
	v_pk_mul_f32 v[6:7], v[2:3], v[6:7] op_sel_hi:[0,1]
	v_pk_mul_f32 v[8:9], v[2:3], v[8:9] op_sel_hi:[0,1]
	;; [unrolled: 1-line block ×3, first 2 shown]
	v_add_nc_u64_e32 v[14:15], v[4:5], v[0:1]
	v_pk_mul_f32 v[12:13], v[2:3], v[12:13] op_sel_hi:[0,1]
	v_pk_mul_f32 v[0:1], v[6:7], 0.5 op_sel_hi:[1,0]
	v_pk_mul_f32 v[4:5], v[8:9], 0.5 op_sel_hi:[1,0]
	;; [unrolled: 1-line block ×3, first 2 shown]
	s_delay_alu instid0(VALU_DEP_4)
	v_pk_mul_f32 v[6:7], v[12:13], 0.5 op_sel_hi:[1,0]
	s_clause 0x1
	global_store_b128 v[14:15], v[0:3], off
	global_store_b128 v[14:15], v[4:7], off offset:64
	s_endpgm
	.section	.rodata,"a",@progbits
	.p2align	6, 0x0
	.amdhsa_kernel _ZL22dequantize_block_mxfp4IfEvPKvPT_
		.amdhsa_group_segment_fixed_size 0
		.amdhsa_private_segment_fixed_size 0
		.amdhsa_kernarg_size 16
		.amdhsa_user_sgpr_count 2
		.amdhsa_user_sgpr_dispatch_ptr 0
		.amdhsa_user_sgpr_queue_ptr 0
		.amdhsa_user_sgpr_kernarg_segment_ptr 1
		.amdhsa_user_sgpr_dispatch_id 0
		.amdhsa_user_sgpr_kernarg_preload_length 0
		.amdhsa_user_sgpr_kernarg_preload_offset 0
		.amdhsa_user_sgpr_private_segment_size 0
		.amdhsa_wavefront_size32 1
		.amdhsa_uses_dynamic_stack 0
		.amdhsa_enable_private_segment 0
		.amdhsa_system_sgpr_workgroup_id_x 1
		.amdhsa_system_sgpr_workgroup_id_y 0
		.amdhsa_system_sgpr_workgroup_id_z 0
		.amdhsa_system_sgpr_workgroup_info 0
		.amdhsa_system_vgpr_workitem_id 0
		.amdhsa_next_free_vgpr 21
		.amdhsa_next_free_sgpr 8
		.amdhsa_named_barrier_count 0
		.amdhsa_reserve_vcc 1
		.amdhsa_float_round_mode_32 0
		.amdhsa_float_round_mode_16_64 0
		.amdhsa_float_denorm_mode_32 3
		.amdhsa_float_denorm_mode_16_64 3
		.amdhsa_fp16_overflow 0
		.amdhsa_memory_ordered 1
		.amdhsa_forward_progress 1
		.amdhsa_inst_pref_size 5
		.amdhsa_round_robin_scheduling 0
		.amdhsa_exception_fp_ieee_invalid_op 0
		.amdhsa_exception_fp_denorm_src 0
		.amdhsa_exception_fp_ieee_div_zero 0
		.amdhsa_exception_fp_ieee_overflow 0
		.amdhsa_exception_fp_ieee_underflow 0
		.amdhsa_exception_fp_ieee_inexact 0
		.amdhsa_exception_int_div_zero 0
	.end_amdhsa_kernel
	.section	.text._ZL22dequantize_block_mxfp4IfEvPKvPT_,"axG",@progbits,_ZL22dequantize_block_mxfp4IfEvPKvPT_,comdat
.Lfunc_end36:
	.size	_ZL22dequantize_block_mxfp4IfEvPKvPT_, .Lfunc_end36-_ZL22dequantize_block_mxfp4IfEvPKvPT_
                                        ; -- End function
	.set _ZL22dequantize_block_mxfp4IfEvPKvPT_.num_vgpr, 21
	.set _ZL22dequantize_block_mxfp4IfEvPKvPT_.num_agpr, 0
	.set _ZL22dequantize_block_mxfp4IfEvPKvPT_.numbered_sgpr, 8
	.set _ZL22dequantize_block_mxfp4IfEvPKvPT_.num_named_barrier, 0
	.set _ZL22dequantize_block_mxfp4IfEvPKvPT_.private_seg_size, 0
	.set _ZL22dequantize_block_mxfp4IfEvPKvPT_.uses_vcc, 1
	.set _ZL22dequantize_block_mxfp4IfEvPKvPT_.uses_flat_scratch, 0
	.set _ZL22dequantize_block_mxfp4IfEvPKvPT_.has_dyn_sized_stack, 0
	.set _ZL22dequantize_block_mxfp4IfEvPKvPT_.has_recursion, 0
	.set _ZL22dequantize_block_mxfp4IfEvPKvPT_.has_indirect_call, 0
	.section	.AMDGPU.csdata,"",@progbits
; Kernel info:
; codeLenInByte = 552
; TotalNumSgprs: 10
; NumVgprs: 21
; ScratchSize: 0
; MemoryBound: 0
; FloatMode: 240
; IeeeMode: 1
; LDSByteSize: 0 bytes/workgroup (compile time only)
; SGPRBlocks: 0
; VGPRBlocks: 1
; NumSGPRsForWavesPerEU: 10
; NumVGPRsForWavesPerEU: 21
; NamedBarCnt: 0
; Occupancy: 16
; WaveLimiterHint : 0
; COMPUTE_PGM_RSRC2:SCRATCH_EN: 0
; COMPUTE_PGM_RSRC2:USER_SGPR: 2
; COMPUTE_PGM_RSRC2:TRAP_HANDLER: 0
; COMPUTE_PGM_RSRC2:TGID_X_EN: 1
; COMPUTE_PGM_RSRC2:TGID_Y_EN: 0
; COMPUTE_PGM_RSRC2:TGID_Z_EN: 0
; COMPUTE_PGM_RSRC2:TIDIG_COMP_CNT: 0
	.section	.text._ZL22dequantize_block_nvfp4IfEvPKvPT_l,"axG",@progbits,_ZL22dequantize_block_nvfp4IfEvPKvPT_l,comdat
	.globl	_ZL22dequantize_block_nvfp4IfEvPKvPT_l ; -- Begin function _ZL22dequantize_block_nvfp4IfEvPKvPT_l
	.p2align	8
	.type	_ZL22dequantize_block_nvfp4IfEvPKvPT_l,@function
_ZL22dequantize_block_nvfp4IfEvPKvPT_l: ; @_ZL22dequantize_block_nvfp4IfEvPKvPT_l
; %bb.0:
	s_load_b64 s[4:5], s[0:1], 0x10
	s_bfe_u32 s2, ttmp6, 0x4000c
	s_and_b32 s3, ttmp6, 15
	s_add_co_i32 s2, s2, 1
	s_getreg_b32 s6, hwreg(HW_REG_IB_STS2, 6, 4)
	s_mul_i32 s2, ttmp9, s2
	s_mov_b32 s7, 0
	s_add_co_i32 s3, s3, s2
	s_cmp_eq_u32 s6, 0
	s_cselect_b32 s6, ttmp9, s3
	s_delay_alu instid0(SALU_CYCLE_1)
	s_lshl_b64 s[2:3], s[6:7], 6
	s_wait_kmcnt 0x0
	v_cmp_ge_i64_e64 s4, s[2:3], s[4:5]
	s_and_b32 vcc_lo, exec_lo, s4
	s_cbranch_vccnz .LBB37_8
; %bb.1:
	s_load_b64 s[4:5], s[0:1], 0x0
	v_lshrrev_b32_e32 v1, 3, v0
	s_mul_u64 s[8:9], s[6:7], 36
	s_mov_b32 s6, exec_lo
	s_wait_kmcnt 0x0
	s_add_nc_u64 s[4:5], s[4:5], s[8:9]
	global_load_u8 v2, v1, s[4:5]
	s_wait_loadcnt 0x0
	v_cmpx_lt_i16_e32 0x7e, v2
	s_xor_b32 s6, exec_lo, s6
; %bb.2:
	v_cmp_ne_u16_e32 vcc_lo, 0x7f, v2
	s_and_b32 s7, vcc_lo, exec_lo
; %bb.3:
	s_and_not1_saveexec_b32 s6, s6
; %bb.4:
	v_cmp_ne_u16_e32 vcc_lo, 0, v2
	s_and_not1_b32 s7, s7, exec_lo
	s_and_b32 s8, vcc_lo, exec_lo
	s_delay_alu instid0(SALU_CYCLE_1)
	s_or_b32 s7, s7, s8
; %bb.5:
	s_or_b32 exec_lo, exec_lo, s6
	s_load_b64 s[0:1], s[0:1], 0x8
	v_dual_mov_b32 v3, 0 :: v_dual_mov_b32 v4, 0
	s_and_saveexec_b32 s6, s7
	s_cbranch_execz .LBB37_7
; %bb.6:
	v_and_b32_e32 v2, 0xffff, v2
	s_delay_alu instid0(VALU_DEP_1) | instskip(SKIP_1) | instid1(VALU_DEP_2)
	v_dual_mov_b32 v5, 1.0 :: v_dual_bitop2_b32 v4, 7, v2 bitop3:0x40
	v_bfe_u32 v2, v2, 3, 4
	v_cvt_f32_ubyte0_e32 v4, v4
	s_delay_alu instid0(VALU_DEP_2) | instskip(SKIP_1) | instid1(VALU_DEP_3)
	v_add_nc_u32_e32 v6, -7, v2
	v_cmp_eq_u32_e32 vcc_lo, 0, v2
	v_fmamk_f32 v5, v4, 0x3e000000, v5
	s_delay_alu instid0(VALU_DEP_1) | instskip(NEXT) | instid1(VALU_DEP_4)
	v_cndmask_b32_e32 v2, v5, v4, vcc_lo
	v_cndmask_b32_e64 v4, v6, -9, vcc_lo
	s_delay_alu instid0(VALU_DEP_1) | instskip(NEXT) | instid1(VALU_DEP_1)
	v_ldexp_f32 v2, v2, v4
	v_mul_f32_e32 v4, 0.5, v2
.LBB37_7:
	s_or_b32 exec_lo, exec_lo, s6
	global_load_u8 v5, v0, s[4:5] offset:4
	s_wait_xcnt 0x0
	s_get_pc_i64 s[4:5]
	s_add_nc_u64 s[4:5], s[4:5], _ZL13kvalues_mxfp4@rel64+4
	s_lshl_b64 s[2:3], s[2:3], 2
	s_wait_kmcnt 0x0
	s_add_nc_u64 s[0:1], s[0:1], s[2:3]
	s_wait_loadcnt 0x0
	v_and_b32_e32 v2, 15, v5
	s_delay_alu instid0(VALU_DEP_1)
	v_add_nc_u64_e32 v[6:7], s[4:5], v[2:3]
	v_lshrrev_b32_e32 v2, 4, v5
	s_clause 0x1
	global_load_i8 v5, v[6:7], off
	global_load_i8 v8, v2, s[4:5]
	s_wait_xcnt 0x0
	v_dual_lshlrev_b32 v2, 6, v1 :: v_dual_bitop2_b32 v6, 7, v0 bitop3:0x40
	s_delay_alu instid0(VALU_DEP_1) | instskip(NEXT) | instid1(VALU_DEP_2)
	v_add_nc_u64_e32 v[0:1], s[0:1], v[2:3]
	v_lshlrev_b32_e32 v2, 2, v6
	s_delay_alu instid0(VALU_DEP_1) | instskip(SKIP_4) | instid1(VALU_DEP_1)
	v_add_nc_u64_e32 v[0:1], v[0:1], v[2:3]
	s_wait_loadcnt 0x1
	v_cvt_f32_i32_e32 v5, v5
	s_wait_loadcnt 0x0
	v_cvt_f32_i32_e32 v6, v8
	v_dual_mul_f32 v2, v4, v5 :: v_dual_mul_f32 v3, v4, v6
	s_clause 0x1
	global_store_b32 v[0:1], v2, off
	global_store_b32 v[0:1], v3, off offset:32
.LBB37_8:
	s_endpgm
	.section	.rodata,"a",@progbits
	.p2align	6, 0x0
	.amdhsa_kernel _ZL22dequantize_block_nvfp4IfEvPKvPT_l
		.amdhsa_group_segment_fixed_size 0
		.amdhsa_private_segment_fixed_size 0
		.amdhsa_kernarg_size 24
		.amdhsa_user_sgpr_count 2
		.amdhsa_user_sgpr_dispatch_ptr 0
		.amdhsa_user_sgpr_queue_ptr 0
		.amdhsa_user_sgpr_kernarg_segment_ptr 1
		.amdhsa_user_sgpr_dispatch_id 0
		.amdhsa_user_sgpr_kernarg_preload_length 0
		.amdhsa_user_sgpr_kernarg_preload_offset 0
		.amdhsa_user_sgpr_private_segment_size 0
		.amdhsa_wavefront_size32 1
		.amdhsa_uses_dynamic_stack 0
		.amdhsa_enable_private_segment 0
		.amdhsa_system_sgpr_workgroup_id_x 1
		.amdhsa_system_sgpr_workgroup_id_y 0
		.amdhsa_system_sgpr_workgroup_id_z 0
		.amdhsa_system_sgpr_workgroup_info 0
		.amdhsa_system_vgpr_workitem_id 0
		.amdhsa_next_free_vgpr 9
		.amdhsa_next_free_sgpr 10
		.amdhsa_named_barrier_count 0
		.amdhsa_reserve_vcc 1
		.amdhsa_float_round_mode_32 0
		.amdhsa_float_round_mode_16_64 0
		.amdhsa_float_denorm_mode_32 3
		.amdhsa_float_denorm_mode_16_64 3
		.amdhsa_fp16_overflow 0
		.amdhsa_memory_ordered 1
		.amdhsa_forward_progress 1
		.amdhsa_inst_pref_size 4
		.amdhsa_round_robin_scheduling 0
		.amdhsa_exception_fp_ieee_invalid_op 0
		.amdhsa_exception_fp_denorm_src 0
		.amdhsa_exception_fp_ieee_div_zero 0
		.amdhsa_exception_fp_ieee_overflow 0
		.amdhsa_exception_fp_ieee_underflow 0
		.amdhsa_exception_fp_ieee_inexact 0
		.amdhsa_exception_int_div_zero 0
	.end_amdhsa_kernel
	.section	.text._ZL22dequantize_block_nvfp4IfEvPKvPT_l,"axG",@progbits,_ZL22dequantize_block_nvfp4IfEvPKvPT_l,comdat
.Lfunc_end37:
	.size	_ZL22dequantize_block_nvfp4IfEvPKvPT_l, .Lfunc_end37-_ZL22dequantize_block_nvfp4IfEvPKvPT_l
                                        ; -- End function
	.set _ZL22dequantize_block_nvfp4IfEvPKvPT_l.num_vgpr, 9
	.set _ZL22dequantize_block_nvfp4IfEvPKvPT_l.num_agpr, 0
	.set _ZL22dequantize_block_nvfp4IfEvPKvPT_l.numbered_sgpr, 10
	.set _ZL22dequantize_block_nvfp4IfEvPKvPT_l.num_named_barrier, 0
	.set _ZL22dequantize_block_nvfp4IfEvPKvPT_l.private_seg_size, 0
	.set _ZL22dequantize_block_nvfp4IfEvPKvPT_l.uses_vcc, 1
	.set _ZL22dequantize_block_nvfp4IfEvPKvPT_l.uses_flat_scratch, 0
	.set _ZL22dequantize_block_nvfp4IfEvPKvPT_l.has_dyn_sized_stack, 0
	.set _ZL22dequantize_block_nvfp4IfEvPKvPT_l.has_recursion, 0
	.set _ZL22dequantize_block_nvfp4IfEvPKvPT_l.has_indirect_call, 0
	.section	.AMDGPU.csdata,"",@progbits
; Kernel info:
; codeLenInByte = 472
; TotalNumSgprs: 12
; NumVgprs: 9
; ScratchSize: 0
; MemoryBound: 0
; FloatMode: 240
; IeeeMode: 1
; LDSByteSize: 0 bytes/workgroup (compile time only)
; SGPRBlocks: 0
; VGPRBlocks: 0
; NumSGPRsForWavesPerEU: 12
; NumVGPRsForWavesPerEU: 9
; NamedBarCnt: 0
; Occupancy: 16
; WaveLimiterHint : 0
; COMPUTE_PGM_RSRC2:SCRATCH_EN: 0
; COMPUTE_PGM_RSRC2:USER_SGPR: 2
; COMPUTE_PGM_RSRC2:TRAP_HANDLER: 0
; COMPUTE_PGM_RSRC2:TGID_X_EN: 1
; COMPUTE_PGM_RSRC2:TGID_Y_EN: 0
; COMPUTE_PGM_RSRC2:TGID_Z_EN: 0
; COMPUTE_PGM_RSRC2:TIDIG_COMP_CNT: 0
	.section	.text._ZL13convert_unaryIf6__halfEvPKvPT0_lll15HIP_vector_typeIjLj3EElll,"axG",@progbits,_ZL13convert_unaryIf6__halfEvPKvPT0_lll15HIP_vector_typeIjLj3EElll,comdat
	.globl	_ZL13convert_unaryIf6__halfEvPKvPT0_lll15HIP_vector_typeIjLj3EElll ; -- Begin function _ZL13convert_unaryIf6__halfEvPKvPT0_lll15HIP_vector_typeIjLj3EElll
	.p2align	8
	.type	_ZL13convert_unaryIf6__halfEvPKvPT0_lll15HIP_vector_typeIjLj3EElll,@function
_ZL13convert_unaryIf6__halfEvPKvPT0_lll15HIP_vector_typeIjLj3EElll: ; @_ZL13convert_unaryIf6__halfEvPKvPT0_lll15HIP_vector_typeIjLj3EElll
; %bb.0:
	s_clause 0x1
	s_load_b32 s2, s[0:1], 0x5c
	s_load_b128 s[4:7], s[0:1], 0x10
	s_bfe_u32 s3, ttmp6, 0x4000c
	s_and_b32 s8, ttmp6, 15
	s_add_co_i32 s3, s3, 1
	s_getreg_b32 s19, hwreg(HW_REG_IB_STS2, 6, 4)
	s_mul_i32 s3, ttmp9, s3
	v_mov_b32_e32 v1, 0
	s_add_co_i32 s8, s8, s3
	s_wait_kmcnt 0x0
	s_and_b32 s2, s2, 0xffff
	s_cmp_eq_u32 s19, 0
	s_cselect_b32 s3, ttmp9, s8
	s_delay_alu instid0(SALU_CYCLE_1) | instskip(SKIP_2) | instid1(VALU_DEP_1)
	v_mad_nc_u64_u32 v[0:1], s2, s3, v[0:1]
	s_mov_b32 s3, 0
	s_mov_b32 s2, exec_lo
	v_cmpx_gt_i64_e64 s[4:5], v[0:1]
	s_cbranch_execz .LBB38_16
; %bb.1:
	s_bfe_u32 s2, ttmp6, 0x40010
	s_load_b64 s[20:21], s[0:1], 0x20
	s_and_b32 s8, ttmp7, 0xffff
	s_add_co_i32 s2, s2, 1
	s_bfe_u32 s9, ttmp6, 0x40004
	s_mul_i32 s2, s8, s2
	s_delay_alu instid0(SALU_CYCLE_1) | instskip(SKIP_2) | instid1(SALU_CYCLE_1)
	s_add_co_i32 s9, s9, s2
	s_cmp_eq_u32 s19, 0
	s_cselect_b32 s2, s8, s9
	v_cmp_le_i64_e64 s8, s[6:7], s[2:3]
	s_and_b32 vcc_lo, exec_lo, s8
	s_cbranch_vccnz .LBB38_16
; %bb.2:
	s_clause 0x1
	s_load_b128 s[8:11], s[0:1], 0x0
	s_load_b96 s[16:18], s[0:1], 0x28
	s_add_nc_u64 s[22:23], s[0:1], 0x50
	s_clause 0x1
	s_load_b128 s[12:15], s[0:1], 0x38
	s_load_b64 s[24:25], s[0:1], 0x48
	s_load_b32 s30, s[22:23], 0x4
	s_bfe_u32 s26, ttmp6, 0x40014
	s_wait_xcnt 0x0
	s_lshr_b32 s0, ttmp7, 16
	s_add_co_i32 s26, s26, 1
	s_bfe_u32 s28, ttmp6, 0x40008
	s_mul_i32 s26, s0, s26
	s_mov_b32 s1, 0
	s_add_co_i32 s28, s28, s26
	s_cmp_eq_u32 s19, 0
	s_mov_b32 s27, s1
	s_cselect_b32 s26, s0, s28
	v_lshlrev_b64_e32 v[4:5], 2, v[0:1]
	s_wait_kmcnt 0x0
	v_cmp_gt_i64_e64 s77, s[20:21], s[26:27]
	s_mul_u64 s[54:55], s[6:7], s[4:5]
	s_mov_b32 s29, s1
	s_mov_b32 s31, s1
	v_lshl_add_u64 v[2:3], v[0:1], 1, s[10:11]
	s_mov_b32 s28, s16
	s_mov_b32 s10, s16
	;; [unrolled: 1-line block ×26, first 2 shown]
	s_lshl_b64 s[52:53], s[4:5], 1
	s_mov_b64 s[4:5], 0xffffffff
	s_lshl_b64 s[54:55], s[54:55], 1
	s_sub_co_i32 s78, 0, s18
	s_mov_b32 s79, 0x4f800000
	s_branch .LBB38_4
.LBB38_3:                               ;   in Loop: Header=BB38_4 Depth=1
	s_add_nc_u64 s[2:3], s[2:3], s[30:31]
	s_delay_alu instid0(SALU_CYCLE_1)
	v_cmp_ge_i64_e64 s0, s[2:3], s[6:7]
	s_and_b32 vcc_lo, exec_lo, s0
	s_cbranch_vccnz .LBB38_16
.LBB38_4:                               ; =>This Loop Header: Depth=1
                                        ;     Child Loop BB38_10 Depth 2
                                        ;     Child Loop BB38_14 Depth 2
	s_and_not1_b32 vcc_lo, exec_lo, s77
	s_cbranch_vccnz .LBB38_3
; %bb.5:                                ;   in Loop: Header=BB38_4 Depth=1
	s_load_b32 s18, s[22:23], 0x8
	s_mov_b32 s19, s1
	s_wait_kmcnt 0x0
	s_add_nc_u64 s[56:57], s[26:27], s[18:19]
	s_delay_alu instid0(SALU_CYCLE_1) | instskip(SKIP_1) | instid1(VALU_DEP_1)
	v_max_i64 v[6:7], s[20:21], s[56:57]
	v_cmp_lt_i64_e64 s60, s[56:57], s[20:21]
	v_cndmask_b32_e64 v8, 0, 1, s60
	s_delay_alu instid0(VALU_DEP_1) | instskip(NEXT) | instid1(VALU_DEP_4)
	v_readfirstlane_b32 s0, v8
	v_readfirstlane_b32 s58, v6
	;; [unrolled: 1-line block ×3, first 2 shown]
	s_sub_nc_u64 s[58:59], s[58:59], s[0:1]
	s_delay_alu instid0(SALU_CYCLE_1) | instskip(NEXT) | instid1(SALU_CYCLE_1)
	s_sub_nc_u64 s[56:57], s[58:59], s[56:57]
	s_and_b64 s[58:59], s[56:57], 0xffffffff00000000
	s_delay_alu instid0(SALU_CYCLE_1)
	s_cmp_lg_u64 s[58:59], 0
	s_cbranch_scc0 .LBB38_15
; %bb.6:                                ;   in Loop: Header=BB38_4 Depth=1
	s_cvt_f32_u32 s0, s18
	s_sub_nc_u64 s[62:63], 0, s[18:19]
	s_delay_alu instid0(SALU_CYCLE_2) | instskip(NEXT) | instid1(SALU_CYCLE_3)
	s_fmamk_f32 s0, s79, 0x0, s0
	v_s_rcp_f32 s0, s0
	s_delay_alu instid0(TRANS32_DEP_1) | instskip(NEXT) | instid1(SALU_CYCLE_3)
	s_mul_f32 s0, s0, 0x5f7ffffc
	s_mul_f32 s58, s0, 0x2f800000
	s_delay_alu instid0(SALU_CYCLE_3) | instskip(NEXT) | instid1(SALU_CYCLE_3)
	s_trunc_f32 s58, s58
	s_fmamk_f32 s0, s58, 0xcf800000, s0
	s_cvt_u32_f32 s59, s58
	s_delay_alu instid0(SALU_CYCLE_2) | instskip(NEXT) | instid1(SALU_CYCLE_3)
	s_cvt_u32_f32 s58, s0
	s_mul_u64 s[64:65], s[62:63], s[58:59]
	s_delay_alu instid0(SALU_CYCLE_1)
	s_mul_hi_u32 s67, s58, s65
	s_mul_i32 s66, s58, s65
	s_mul_hi_u32 s0, s58, s64
	s_mul_i32 s68, s59, s64
	s_add_nc_u64 s[66:67], s[0:1], s[66:67]
	s_mul_hi_u32 s61, s59, s64
	s_mul_hi_u32 s69, s59, s65
	s_add_co_u32 s0, s66, s68
	s_add_co_ci_u32 s0, s67, s61
	s_mul_i32 s64, s59, s65
	s_add_co_ci_u32 s65, s69, 0
	s_delay_alu instid0(SALU_CYCLE_1) | instskip(NEXT) | instid1(SALU_CYCLE_1)
	s_add_nc_u64 s[64:65], s[0:1], s[64:65]
	s_add_co_u32 s58, s58, s64
	s_cselect_b32 s0, -1, 0
	s_delay_alu instid0(SALU_CYCLE_1) | instskip(SKIP_1) | instid1(SALU_CYCLE_1)
	s_cmp_lg_u32 s0, 0
	s_add_co_ci_u32 s59, s59, s65
	s_mul_u64 s[62:63], s[62:63], s[58:59]
	s_delay_alu instid0(SALU_CYCLE_1)
	s_mul_hi_u32 s65, s58, s63
	s_mul_i32 s64, s58, s63
	s_mul_hi_u32 s0, s58, s62
	s_mul_i32 s66, s59, s62
	s_add_nc_u64 s[64:65], s[0:1], s[64:65]
	s_mul_hi_u32 s61, s59, s62
	s_mul_hi_u32 s67, s59, s63
	s_add_co_u32 s0, s64, s66
	s_add_co_ci_u32 s0, s65, s61
	s_mul_i32 s62, s59, s63
	s_add_co_ci_u32 s63, s67, 0
	s_delay_alu instid0(SALU_CYCLE_1) | instskip(NEXT) | instid1(SALU_CYCLE_1)
	s_add_nc_u64 s[62:63], s[0:1], s[62:63]
	s_add_co_u32 s58, s58, s62
	s_cselect_b32 s61, -1, 0
	s_mul_hi_u32 s0, s56, s58
	s_cmp_lg_u32 s61, 0
	s_mul_hi_u32 s61, s57, s58
	s_add_co_ci_u32 s62, s59, s63
	s_mul_i32 s63, s57, s58
	s_mul_hi_u32 s59, s56, s62
	s_mul_i32 s58, s56, s62
	s_mul_hi_u32 s64, s57, s62
	s_add_nc_u64 s[58:59], s[0:1], s[58:59]
	s_mul_i32 s62, s57, s62
	s_add_co_u32 s0, s58, s63
	s_add_co_ci_u32 s0, s59, s61
	s_add_co_ci_u32 s63, s64, 0
	s_delay_alu instid0(SALU_CYCLE_1) | instskip(NEXT) | instid1(SALU_CYCLE_1)
	s_add_nc_u64 s[58:59], s[0:1], s[62:63]
	s_and_b64 s[62:63], s[58:59], 0xffffffff00000000
	s_delay_alu instid0(SALU_CYCLE_1) | instskip(NEXT) | instid1(SALU_CYCLE_1)
	s_or_b32 s62, s62, s58
	s_mul_u64 s[58:59], s[18:19], s[62:63]
	s_add_nc_u64 s[64:65], s[62:63], 2
	s_sub_co_u32 s0, s56, s58
	s_cselect_b32 s58, -1, 0
	s_delay_alu instid0(SALU_CYCLE_1) | instskip(SKIP_3) | instid1(SALU_CYCLE_1)
	s_cmp_lg_u32 s58, 0
	s_sub_co_ci_u32 s57, s57, s59
	s_sub_co_u32 s58, s0, s18
	s_cselect_b32 s59, -1, 0
	s_cmp_lg_u32 s59, 0
	s_sub_co_ci_u32 s59, s57, 0
	s_cmp_ge_u32 s58, s18
	s_cselect_b32 s61, -1, 0
	s_cmp_eq_u32 s59, 0
	s_add_nc_u64 s[58:59], s[62:63], 1
	s_cselect_b32 s61, s61, -1
	s_delay_alu instid0(SALU_CYCLE_1)
	s_cmp_lg_u32 s61, 0
	s_cselect_b32 s58, s64, s58
	s_cselect_b32 s59, s65, s59
	s_cmp_ge_u32 s0, s18
	s_cselect_b32 s0, -1, 0
	s_cmp_eq_u32 s57, 0
	s_cselect_b32 s0, s0, -1
	s_delay_alu instid0(SALU_CYCLE_1)
	s_cmp_lg_u32 s0, 0
	s_cselect_b32 s59, s59, s63
	s_cselect_b32 s58, s58, s62
	s_cbranch_execnz .LBB38_8
.LBB38_7:                               ;   in Loop: Header=BB38_4 Depth=1
	v_cvt_f32_u32_e32 v6, s18
	s_sub_co_i32 s57, 0, s18
	s_delay_alu instid0(VALU_DEP_1) | instskip(SKIP_1) | instid1(TRANS32_DEP_1)
	v_rcp_iflag_f32_e32 v6, v6
	v_nop
	v_mul_f32_e32 v6, 0x4f7ffffe, v6
	s_delay_alu instid0(VALU_DEP_1) | instskip(NEXT) | instid1(VALU_DEP_1)
	v_cvt_u32_f32_e32 v6, v6
	v_readfirstlane_b32 s0, v6
	s_mul_i32 s57, s57, s0
	s_delay_alu instid0(SALU_CYCLE_1) | instskip(NEXT) | instid1(SALU_CYCLE_1)
	s_mul_hi_u32 s57, s0, s57
	s_add_co_i32 s0, s0, s57
	s_delay_alu instid0(SALU_CYCLE_1) | instskip(NEXT) | instid1(SALU_CYCLE_1)
	s_mul_hi_u32 s0, s56, s0
	s_mul_i32 s57, s0, s18
	s_delay_alu instid0(SALU_CYCLE_1)
	s_sub_co_i32 s56, s56, s57
	s_add_co_i32 s57, s0, 1
	s_sub_co_i32 s58, s56, s18
	s_cmp_ge_u32 s56, s18
	s_cselect_b32 s0, s57, s0
	s_cselect_b32 s56, s58, s56
	s_add_co_i32 s57, s0, 1
	s_cmp_ge_u32 s56, s18
	s_cselect_b32 s0, s57, s0
	s_delay_alu instid0(SALU_CYCLE_1)
	s_mov_b64 s[58:59], s[0:1]
.LBB38_8:                               ;   in Loop: Header=BB38_4 Depth=1
	s_and_b32 s0, s60, exec_lo
	s_cselect_b32 s0, 2, 1
	s_mul_u64 s[56:57], s[2:3], s[12:13]
	s_add_nc_u64 s[58:59], s[0:1], s[58:59]
	s_mov_b32 s0, -1
	v_cmp_lt_u64_e64 s60, s[58:59], 2
	s_and_b32 vcc_lo, exec_lo, s60
	s_mov_b64 s[60:61], s[26:27]
	s_cbranch_vccnz .LBB38_12
; %bb.9:                                ;   in Loop: Header=BB38_4 Depth=1
	s_and_b64 s[60:61], s[58:59], -2
	s_lshl_b64 s[68:69], s[18:19], 1
	s_mov_b32 s62, s2
	s_mov_b32 s63, s3
	s_add_nc_u64 s[64:65], s[50:51], s[18:19]
	s_mov_b32 s66, s75
	s_mov_b32 s67, s76
	;; [unrolled: 1-line block ×4, first 2 shown]
	s_mov_b64 s[72:73], s[60:61]
.LBB38_10:                              ;   Parent Loop BB38_4 Depth=1
                                        ; =>  This Inner Loop Header: Depth=2
	s_and_b64 s[80:81], s[66:67], s[4:5]
	s_mov_b32 s0, s64
	s_mul_u64 s[80:81], s[80:81], s[10:11]
	s_mul_u64 s[90:91], s[0:1], s[34:35]
	s_add_co_i32 s0, s81, s66
	s_add_co_i32 s80, s91, s64
	s_lshr_b32 s84, s0, s16
	s_lshr_b32 s86, s80, s17
	s_mov_b32 s85, s1
	s_mul_i32 s0, s84, s33
	s_mov_b32 s87, s1
	s_mul_i32 s82, s86, s74
	s_mul_u64 s[84:85], s[24:25], s[84:85]
	s_sub_co_i32 s0, s66, s0
	s_mov_b32 s83, s1
	s_mul_u64 s[80:81], s[36:37], s[86:87]
	s_sub_co_i32 s82, s64, s82
	s_lshl_b64 s[84:85], s[84:85], 2
	s_mul_u64 s[86:87], s[38:39], s[0:1]
	s_lshl_b64 s[80:81], s[80:81], 2
	s_mul_u64 s[82:83], s[40:41], s[82:83]
	s_add_nc_u64 s[84:85], s[8:9], s[84:85]
	s_lshl_b64 s[86:87], s[86:87], 2
	s_add_nc_u64 s[80:81], s[8:9], s[80:81]
	s_lshl_b64 s[82:83], s[82:83], 2
	s_lshl_b64 s[88:89], s[56:57], 2
	s_add_nc_u64 s[84:85], s[84:85], s[86:87]
	s_add_nc_u64 s[80:81], s[80:81], s[82:83]
	;; [unrolled: 1-line block ×4, first 2 shown]
	s_wait_xcnt 0x0
	v_add_nc_u64_e32 v[6:7], s[82:83], v[4:5]
	v_add_nc_u64_e32 v[8:9], s[80:81], v[4:5]
	s_clause 0x1
	global_load_b32 v10, v[6:7], off
	global_load_b32 v11, v[8:9], off
	s_mul_u64 s[82:83], s[66:67], s[42:43]
	s_mul_u64 s[80:81], s[64:65], s[44:45]
	s_add_nc_u64 s[82:83], s[82:83], s[2:3]
	s_add_nc_u64 s[80:81], s[80:81], s[62:63]
	s_mul_u64 s[82:83], s[82:83], s[46:47]
	s_mul_u64 s[80:81], s[80:81], s[48:49]
	s_wait_xcnt 0x1
	v_lshl_add_u64 v[6:7], s[82:83], 1, v[2:3]
	s_add_nc_u64 s[72:73], s[72:73], -2
	s_wait_xcnt 0x0
	v_lshl_add_u64 v[8:9], s[80:81], 1, v[2:3]
	s_add_nc_u64 s[64:65], s[64:65], s[70:71]
	s_add_nc_u64 s[66:67], s[66:67], s[68:69]
	s_cmp_lg_u64 s[72:73], 0
	s_wait_loadcnt 0x0
	v_cvt_pk_f16_f32 v10, v10, v11
	s_clause 0x1
	global_store_b16 v[6:7], v10, off
	global_store_d16_hi_b16 v[8:9], v10, off
	s_cbranch_scc1 .LBB38_10
; %bb.11:                               ;   in Loop: Header=BB38_4 Depth=1
	s_mul_u64 s[62:63], s[60:61], s[18:19]
	s_cmp_lg_u64 s[58:59], s[60:61]
	s_add_nc_u64 s[60:61], s[62:63], s[26:27]
	s_cselect_b32 s0, -1, 0
.LBB38_12:                              ;   in Loop: Header=BB38_4 Depth=1
	s_delay_alu instid0(SALU_CYCLE_1)
	s_and_b32 vcc_lo, exec_lo, s0
	s_cbranch_vccz .LBB38_3
; %bb.13:                               ;   in Loop: Header=BB38_4 Depth=1
	s_mul_u64 s[58:59], s[6:7], s[60:61]
	s_delay_alu instid0(SALU_CYCLE_1)
	s_add_nc_u64 s[58:59], s[2:3], s[58:59]
	s_wait_xcnt 0x0
	v_mad_nc_u64_u32 v[6:7], s52, s58, v[2:3]
	s_mul_i32 s0, s53, s58
	s_mul_i32 s58, s52, s59
	s_delay_alu instid0(VALU_DEP_1) | instid1(SALU_CYCLE_1)
	v_add3_u32 v7, s58, s0, v7
	s_mul_u64 s[58:59], s[54:55], s[18:19]
.LBB38_14:                              ;   Parent Loop BB38_4 Depth=1
                                        ; =>  This Inner Loop Header: Depth=2
	s_and_b64 s[62:63], s[60:61], s[4:5]
	s_mov_b32 s65, s1
	s_mul_u64 s[62:63], s[28:29], s[62:63]
	s_lshl_b64 s[66:67], s[56:57], 2
	s_add_co_i32 s0, s60, s63
	s_delay_alu instid0(SALU_CYCLE_1) | instskip(NEXT) | instid1(SALU_CYCLE_1)
	s_lshr_b32 s64, s0, s17
	s_mul_i32 s0, s78, s64
	s_mul_u64 s[62:63], s[24:25], s[64:65]
	s_add_co_i32 s0, s60, s0
	s_lshl_b64 s[62:63], s[62:63], 2
	s_mul_u64 s[64:65], s[14:15], s[0:1]
	s_add_nc_u64 s[62:63], s[8:9], s[62:63]
	s_lshl_b64 s[64:65], s[64:65], 2
	s_add_nc_u64 s[60:61], s[60:61], s[18:19]
	s_add_nc_u64 s[62:63], s[62:63], s[64:65]
	v_cmp_ge_i64_e64 s0, s[60:61], s[20:21]
	s_add_nc_u64 s[62:63], s[62:63], s[66:67]
	s_wait_xcnt 0x0
	v_lshl_add_u64 v[8:9], v[0:1], 2, s[62:63]
	s_and_b32 vcc_lo, exec_lo, s0
	global_load_b32 v8, v[8:9], off
	s_wait_loadcnt 0x0
	v_cvt_f16_f32_e32 v8, v8
	global_store_b16 v[6:7], v8, off
	s_wait_xcnt 0x0
	v_add_nc_u64_e32 v[6:7], s[58:59], v[6:7]
	s_cbranch_vccz .LBB38_14
	s_branch .LBB38_3
.LBB38_15:                              ;   in Loop: Header=BB38_4 Depth=1
                                        ; implicit-def: $sgpr58_sgpr59
	s_branch .LBB38_7
.LBB38_16:
	s_endpgm
	.section	.rodata,"a",@progbits
	.p2align	6, 0x0
	.amdhsa_kernel _ZL13convert_unaryIf6__halfEvPKvPT0_lll15HIP_vector_typeIjLj3EElll
		.amdhsa_group_segment_fixed_size 0
		.amdhsa_private_segment_fixed_size 0
		.amdhsa_kernarg_size 336
		.amdhsa_user_sgpr_count 2
		.amdhsa_user_sgpr_dispatch_ptr 0
		.amdhsa_user_sgpr_queue_ptr 0
		.amdhsa_user_sgpr_kernarg_segment_ptr 1
		.amdhsa_user_sgpr_dispatch_id 0
		.amdhsa_user_sgpr_kernarg_preload_length 0
		.amdhsa_user_sgpr_kernarg_preload_offset 0
		.amdhsa_user_sgpr_private_segment_size 0
		.amdhsa_wavefront_size32 1
		.amdhsa_uses_dynamic_stack 0
		.amdhsa_enable_private_segment 0
		.amdhsa_system_sgpr_workgroup_id_x 1
		.amdhsa_system_sgpr_workgroup_id_y 1
		.amdhsa_system_sgpr_workgroup_id_z 1
		.amdhsa_system_sgpr_workgroup_info 0
		.amdhsa_system_vgpr_workitem_id 0
		.amdhsa_next_free_vgpr 12
		.amdhsa_next_free_sgpr 92
		.amdhsa_named_barrier_count 0
		.amdhsa_reserve_vcc 1
		.amdhsa_float_round_mode_32 0
		.amdhsa_float_round_mode_16_64 0
		.amdhsa_float_denorm_mode_32 3
		.amdhsa_float_denorm_mode_16_64 3
		.amdhsa_fp16_overflow 0
		.amdhsa_memory_ordered 1
		.amdhsa_forward_progress 1
		.amdhsa_inst_pref_size 14
		.amdhsa_round_robin_scheduling 0
		.amdhsa_exception_fp_ieee_invalid_op 0
		.amdhsa_exception_fp_denorm_src 0
		.amdhsa_exception_fp_ieee_div_zero 0
		.amdhsa_exception_fp_ieee_overflow 0
		.amdhsa_exception_fp_ieee_underflow 0
		.amdhsa_exception_fp_ieee_inexact 0
		.amdhsa_exception_int_div_zero 0
	.end_amdhsa_kernel
	.section	.text._ZL13convert_unaryIf6__halfEvPKvPT0_lll15HIP_vector_typeIjLj3EElll,"axG",@progbits,_ZL13convert_unaryIf6__halfEvPKvPT0_lll15HIP_vector_typeIjLj3EElll,comdat
.Lfunc_end38:
	.size	_ZL13convert_unaryIf6__halfEvPKvPT0_lll15HIP_vector_typeIjLj3EElll, .Lfunc_end38-_ZL13convert_unaryIf6__halfEvPKvPT0_lll15HIP_vector_typeIjLj3EElll
                                        ; -- End function
	.set _ZL13convert_unaryIf6__halfEvPKvPT0_lll15HIP_vector_typeIjLj3EElll.num_vgpr, 12
	.set _ZL13convert_unaryIf6__halfEvPKvPT0_lll15HIP_vector_typeIjLj3EElll.num_agpr, 0
	.set _ZL13convert_unaryIf6__halfEvPKvPT0_lll15HIP_vector_typeIjLj3EElll.numbered_sgpr, 92
	.set _ZL13convert_unaryIf6__halfEvPKvPT0_lll15HIP_vector_typeIjLj3EElll.num_named_barrier, 0
	.set _ZL13convert_unaryIf6__halfEvPKvPT0_lll15HIP_vector_typeIjLj3EElll.private_seg_size, 0
	.set _ZL13convert_unaryIf6__halfEvPKvPT0_lll15HIP_vector_typeIjLj3EElll.uses_vcc, 1
	.set _ZL13convert_unaryIf6__halfEvPKvPT0_lll15HIP_vector_typeIjLj3EElll.uses_flat_scratch, 0
	.set _ZL13convert_unaryIf6__halfEvPKvPT0_lll15HIP_vector_typeIjLj3EElll.has_dyn_sized_stack, 0
	.set _ZL13convert_unaryIf6__halfEvPKvPT0_lll15HIP_vector_typeIjLj3EElll.has_recursion, 0
	.set _ZL13convert_unaryIf6__halfEvPKvPT0_lll15HIP_vector_typeIjLj3EElll.has_indirect_call, 0
	.section	.AMDGPU.csdata,"",@progbits
; Kernel info:
; codeLenInByte = 1696
; TotalNumSgprs: 94
; NumVgprs: 12
; ScratchSize: 0
; MemoryBound: 0
; FloatMode: 240
; IeeeMode: 1
; LDSByteSize: 0 bytes/workgroup (compile time only)
; SGPRBlocks: 0
; VGPRBlocks: 0
; NumSGPRsForWavesPerEU: 94
; NumVGPRsForWavesPerEU: 12
; NamedBarCnt: 0
; Occupancy: 16
; WaveLimiterHint : 0
; COMPUTE_PGM_RSRC2:SCRATCH_EN: 0
; COMPUTE_PGM_RSRC2:USER_SGPR: 2
; COMPUTE_PGM_RSRC2:TRAP_HANDLER: 0
; COMPUTE_PGM_RSRC2:TGID_X_EN: 1
; COMPUTE_PGM_RSRC2:TGID_Y_EN: 1
; COMPUTE_PGM_RSRC2:TGID_Z_EN: 1
; COMPUTE_PGM_RSRC2:TIDIG_COMP_CNT: 0
	.section	.text._ZL16dequantize_blockILi128ELi1EXadL_ZL15dequantize_q1_0PKvliR15HIP_vector_typeIfLj2EEEE6__halfEvS1_PT2_lllS2_IjLj3EElll,"axG",@progbits,_ZL16dequantize_blockILi128ELi1EXadL_ZL15dequantize_q1_0PKvliR15HIP_vector_typeIfLj2EEEE6__halfEvS1_PT2_lllS2_IjLj3EElll,comdat
	.globl	_ZL16dequantize_blockILi128ELi1EXadL_ZL15dequantize_q1_0PKvliR15HIP_vector_typeIfLj2EEEE6__halfEvS1_PT2_lllS2_IjLj3EElll ; -- Begin function _ZL16dequantize_blockILi128ELi1EXadL_ZL15dequantize_q1_0PKvliR15HIP_vector_typeIfLj2EEEE6__halfEvS1_PT2_lllS2_IjLj3EElll
	.p2align	8
	.type	_ZL16dequantize_blockILi128ELi1EXadL_ZL15dequantize_q1_0PKvliR15HIP_vector_typeIfLj2EEEE6__halfEvS1_PT2_lllS2_IjLj3EElll,@function
_ZL16dequantize_blockILi128ELi1EXadL_ZL15dequantize_q1_0PKvliR15HIP_vector_typeIfLj2EEEE6__halfEvS1_PT2_lllS2_IjLj3EElll: ; @_ZL16dequantize_blockILi128ELi1EXadL_ZL15dequantize_q1_0PKvliR15HIP_vector_typeIfLj2EEEE6__halfEvS1_PT2_lllS2_IjLj3EElll
; %bb.0:
	s_clause 0x1
	s_load_b32 s12, s[0:1], 0x5c
	s_load_b128 s[4:7], s[0:1], 0x10
	s_bfe_u32 s2, ttmp6, 0x4000c
	s_and_b32 s3, ttmp6, 15
	s_add_co_i32 s2, s2, 1
	s_getreg_b32 s14, hwreg(HW_REG_IB_STS2, 6, 4)
	s_mul_i32 s2, ttmp9, s2
	v_mov_b32_e32 v1, 0
	s_add_co_i32 s3, s3, s2
	s_cmp_eq_u32 s14, 0
	s_cselect_b32 s13, ttmp9, s3
	s_mov_b32 s3, 0
	s_wait_kmcnt 0x0
	s_and_b32 s2, s12, 0xffff
	s_delay_alu instid0(SALU_CYCLE_1) | instskip(SKIP_1) | instid1(VALU_DEP_1)
	v_mad_nc_u64_u32 v[2:3], s2, s13, v[0:1]
	s_mov_b32 s2, exec_lo
	v_lshlrev_b64_e32 v[6:7], 1, v[2:3]
	s_delay_alu instid0(VALU_DEP_1)
	v_cmpx_gt_i64_e64 s[4:5], v[6:7]
	s_cbranch_execz .LBB39_7
; %bb.1:
	s_bfe_u32 s2, ttmp6, 0x40010
	s_load_b64 s[20:21], s[0:1], 0x20
	s_and_b32 s8, ttmp7, 0xffff
	s_add_co_i32 s2, s2, 1
	s_bfe_u32 s9, ttmp6, 0x40004
	s_mul_i32 s2, s8, s2
	s_delay_alu instid0(SALU_CYCLE_1) | instskip(SKIP_2) | instid1(SALU_CYCLE_1)
	s_add_co_i32 s9, s9, s2
	s_cmp_eq_u32 s14, 0
	s_cselect_b32 s2, s8, s9
	v_cmp_le_i64_e64 s8, s[6:7], s[2:3]
	s_and_b32 vcc_lo, exec_lo, s8
	s_cbranch_vccnz .LBB39_7
; %bb.2:
	s_bfe_u32 s15, ttmp6, 0x40014
	s_lshr_b32 s19, ttmp7, 16
	s_add_co_i32 s15, s15, 1
	v_lshrrev_b64 v[2:3], 6, v[2:3]
	s_mul_i32 s15, s19, s15
	s_bfe_u32 s24, ttmp6, 0x40008
	s_mul_i32 s13, s13, s12
	s_add_co_i32 s24, s24, s15
	s_cmp_eq_u32 s14, 0
	v_add_nc_u16 v0, s13, v0
	s_mov_b32 s25, 0
	s_cselect_b32 s24, s19, s24
	s_clause 0x1
	s_load_b128 s[8:11], s[0:1], 0x0
	s_load_b96 s[16:18], s[0:1], 0x28
	v_lshlrev_b64_e32 v[4:5], 8, v[2:3]
	s_add_nc_u64 s[22:23], s[0:1], 0x50
	s_mul_u64 s[12:13], s[6:7], s[24:25]
	s_load_b32 s26, s[22:23], 0x4
	s_add_nc_u64 s[12:13], s[12:13], s[2:3]
	v_dual_mov_b32 v1, 0 :: v_dual_bitop2_b32 v0, 63, v0 bitop3:0x40
	s_mul_u64 s[12:13], s[4:5], s[12:13]
	s_mov_b32 s27, s25
	v_lshl_add_u64 v[8:9], s[12:13], 1, v[4:5]
	s_clause 0x1
	s_load_b128 s[12:15], s[0:1], 0x38
	s_load_b64 s[28:29], s[0:1], 0x48
	v_dual_mov_b32 v11, v1 :: v_dual_lshlrev_b32 v10, 2, v0
	v_and_b32_e32 v4, 6, v6
	v_bfe_u32 v0, v6, 3, 4
	s_mul_u64 s[34:35], s[6:7], s[4:5]
	s_wait_xcnt 0x0
	s_mov_b64 s[0:1], s[24:25]
	v_add_nc_u64_e32 v[8:9], v[8:9], v[10:11]
	v_or_b32_e32 v5, 1, v4
	s_wait_kmcnt 0x0
	s_mov_b32 s30, s16
	v_cmp_gt_i64_e64 s16, s[20:21], s[24:25]
	s_mov_b32 s31, s25
	s_lshl_b64 s[34:35], s[34:35], 1
	s_sub_co_i32 s33, 0, s18
	v_add_nc_u64_e32 v[6:7], s[10:11], v[8:9]
	s_mul_u64 s[10:11], s[4:5], s[26:27]
	s_mov_b64 s[4:5], 0xffffffff
	s_lshl_b64 s[10:11], s[10:11], 1
	s_branch .LBB39_4
.LBB39_3:                               ;   in Loop: Header=BB39_4 Depth=1
	s_add_nc_u64 s[2:3], s[2:3], s[26:27]
	v_add_nc_u64_e32 v[6:7], s[10:11], v[6:7]
	v_cmp_ge_i64_e64 s18, s[2:3], s[6:7]
	s_and_b32 vcc_lo, exec_lo, s18
	s_cbranch_vccnz .LBB39_7
.LBB39_4:                               ; =>This Loop Header: Depth=1
                                        ;     Child Loop BB39_6 Depth 2
	s_and_not1_b32 vcc_lo, exec_lo, s16
	s_cbranch_vccnz .LBB39_3
; %bb.5:                                ;   in Loop: Header=BB39_4 Depth=1
	s_load_b32 s18, s[22:23], 0x8
	v_mov_b64_e32 v[8:9], v[6:7]
	s_mul_u64 s[36:37], s[2:3], s[12:13]
	s_mov_b32 s19, s25
	s_mul_u64 s[36:37], s[36:37], 18
	s_mov_b64 s[40:41], s[0:1]
	s_wait_kmcnt 0x0
	s_mul_u64 s[38:39], s[34:35], s[18:19]
.LBB39_6:                               ;   Parent Loop BB39_4 Depth=1
                                        ; =>  This Inner Loop Header: Depth=2
	s_and_b64 s[42:43], s[40:41], s[4:5]
	s_mov_b32 s45, s25
	s_mul_u64 s[42:43], s[30:31], s[42:43]
	s_delay_alu instid0(SALU_CYCLE_1) | instskip(NEXT) | instid1(SALU_CYCLE_1)
	s_add_co_i32 s24, s40, s43
	s_lshr_b32 s44, s24, s17
	s_delay_alu instid0(SALU_CYCLE_1)
	s_mul_i32 s24, s33, s44
	s_mul_u64 s[42:43], s[28:29], s[44:45]
	s_add_co_i32 s24, s40, s24
	s_mul_u64 s[42:43], s[42:43], 18
	s_mul_u64 s[44:45], s[14:15], s[24:25]
	s_add_nc_u64 s[42:43], s[8:9], s[42:43]
	s_mul_u64 s[44:45], s[44:45], 18
	s_add_nc_u64 s[40:41], s[40:41], s[18:19]
	s_add_nc_u64 s[42:43], s[42:43], s[44:45]
	v_cmp_ge_i64_e64 s24, s[40:41], s[20:21]
	s_add_nc_u64 s[42:43], s[42:43], s[36:37]
	s_delay_alu instid0(SALU_CYCLE_1) | instskip(SKIP_1) | instid1(VALU_DEP_1)
	v_mad_nc_u64_u32 v[10:11], v2, 18, s[42:43]
	s_and_b32 vcc_lo, exec_lo, s24
	v_mad_u32 v11, v3, 18, v11
	s_delay_alu instid0(VALU_DEP_1)
	v_add_nc_u64_e32 v[12:13], v[10:11], v[0:1]
	s_clause 0x1
	global_load_u16 v14, v[10:11], off
	global_load_u8 v15, v[12:13], off offset:2
	s_wait_loadcnt 0x0
	s_wait_xcnt 0x1
	v_dual_lshrrev_b32 v10, v5, v15 :: v_dual_lshrrev_b32 v11, v4, v15
	s_delay_alu instid0(VALU_DEP_1) | instskip(NEXT) | instid1(VALU_DEP_1)
	v_dual_lshlrev_b32 v10, 1, v10 :: v_dual_lshlrev_b32 v11, 1, v11
	v_and_b32_e32 v11, 2, v11
	s_delay_alu instid0(VALU_DEP_1) | instskip(SKIP_1) | instid1(VALU_DEP_1)
	v_dual_add_nc_u32 v11, -1, v11 :: v_dual_bitop2_b32 v10, 2, v10 bitop3:0x40
	s_wait_xcnt 0x0
	v_add_nc_u32_e32 v12, -1, v10
	v_cvt_f32_f16_e32 v10, v14
	s_delay_alu instid0(VALU_DEP_2) | instskip(SKIP_1) | instid1(VALU_DEP_1)
	v_cvt_f32_i32_e32 v13, v12
	v_cvt_f32_i32_e32 v12, v11
	v_pk_mul_f32 v[10:11], v[10:11], v[12:13] op_sel_hi:[0,1]
	s_delay_alu instid0(VALU_DEP_1)
	v_cvt_pk_f16_f32 v10, v10, v11
	global_store_b32 v[8:9], v10, off
	s_wait_xcnt 0x0
	v_add_nc_u64_e32 v[8:9], s[38:39], v[8:9]
	s_cbranch_vccz .LBB39_6
	s_branch .LBB39_3
.LBB39_7:
	s_endpgm
	.section	.rodata,"a",@progbits
	.p2align	6, 0x0
	.amdhsa_kernel _ZL16dequantize_blockILi128ELi1EXadL_ZL15dequantize_q1_0PKvliR15HIP_vector_typeIfLj2EEEE6__halfEvS1_PT2_lllS2_IjLj3EElll
		.amdhsa_group_segment_fixed_size 0
		.amdhsa_private_segment_fixed_size 0
		.amdhsa_kernarg_size 336
		.amdhsa_user_sgpr_count 2
		.amdhsa_user_sgpr_dispatch_ptr 0
		.amdhsa_user_sgpr_queue_ptr 0
		.amdhsa_user_sgpr_kernarg_segment_ptr 1
		.amdhsa_user_sgpr_dispatch_id 0
		.amdhsa_user_sgpr_kernarg_preload_length 0
		.amdhsa_user_sgpr_kernarg_preload_offset 0
		.amdhsa_user_sgpr_private_segment_size 0
		.amdhsa_wavefront_size32 1
		.amdhsa_uses_dynamic_stack 0
		.amdhsa_enable_private_segment 0
		.amdhsa_system_sgpr_workgroup_id_x 1
		.amdhsa_system_sgpr_workgroup_id_y 1
		.amdhsa_system_sgpr_workgroup_id_z 1
		.amdhsa_system_sgpr_workgroup_info 0
		.amdhsa_system_vgpr_workitem_id 0
		.amdhsa_next_free_vgpr 16
		.amdhsa_next_free_sgpr 46
		.amdhsa_named_barrier_count 0
		.amdhsa_reserve_vcc 1
		.amdhsa_float_round_mode_32 0
		.amdhsa_float_round_mode_16_64 0
		.amdhsa_float_denorm_mode_32 3
		.amdhsa_float_denorm_mode_16_64 3
		.amdhsa_fp16_overflow 0
		.amdhsa_memory_ordered 1
		.amdhsa_forward_progress 1
		.amdhsa_inst_pref_size 7
		.amdhsa_round_robin_scheduling 0
		.amdhsa_exception_fp_ieee_invalid_op 0
		.amdhsa_exception_fp_denorm_src 0
		.amdhsa_exception_fp_ieee_div_zero 0
		.amdhsa_exception_fp_ieee_overflow 0
		.amdhsa_exception_fp_ieee_underflow 0
		.amdhsa_exception_fp_ieee_inexact 0
		.amdhsa_exception_int_div_zero 0
	.end_amdhsa_kernel
	.section	.text._ZL16dequantize_blockILi128ELi1EXadL_ZL15dequantize_q1_0PKvliR15HIP_vector_typeIfLj2EEEE6__halfEvS1_PT2_lllS2_IjLj3EElll,"axG",@progbits,_ZL16dequantize_blockILi128ELi1EXadL_ZL15dequantize_q1_0PKvliR15HIP_vector_typeIfLj2EEEE6__halfEvS1_PT2_lllS2_IjLj3EElll,comdat
.Lfunc_end39:
	.size	_ZL16dequantize_blockILi128ELi1EXadL_ZL15dequantize_q1_0PKvliR15HIP_vector_typeIfLj2EEEE6__halfEvS1_PT2_lllS2_IjLj3EElll, .Lfunc_end39-_ZL16dequantize_blockILi128ELi1EXadL_ZL15dequantize_q1_0PKvliR15HIP_vector_typeIfLj2EEEE6__halfEvS1_PT2_lllS2_IjLj3EElll
                                        ; -- End function
	.set _ZL16dequantize_blockILi128ELi1EXadL_ZL15dequantize_q1_0PKvliR15HIP_vector_typeIfLj2EEEE6__halfEvS1_PT2_lllS2_IjLj3EElll.num_vgpr, 16
	.set _ZL16dequantize_blockILi128ELi1EXadL_ZL15dequantize_q1_0PKvliR15HIP_vector_typeIfLj2EEEE6__halfEvS1_PT2_lllS2_IjLj3EElll.num_agpr, 0
	.set _ZL16dequantize_blockILi128ELi1EXadL_ZL15dequantize_q1_0PKvliR15HIP_vector_typeIfLj2EEEE6__halfEvS1_PT2_lllS2_IjLj3EElll.numbered_sgpr, 46
	.set _ZL16dequantize_blockILi128ELi1EXadL_ZL15dequantize_q1_0PKvliR15HIP_vector_typeIfLj2EEEE6__halfEvS1_PT2_lllS2_IjLj3EElll.num_named_barrier, 0
	.set _ZL16dequantize_blockILi128ELi1EXadL_ZL15dequantize_q1_0PKvliR15HIP_vector_typeIfLj2EEEE6__halfEvS1_PT2_lllS2_IjLj3EElll.private_seg_size, 0
	.set _ZL16dequantize_blockILi128ELi1EXadL_ZL15dequantize_q1_0PKvliR15HIP_vector_typeIfLj2EEEE6__halfEvS1_PT2_lllS2_IjLj3EElll.uses_vcc, 1
	.set _ZL16dequantize_blockILi128ELi1EXadL_ZL15dequantize_q1_0PKvliR15HIP_vector_typeIfLj2EEEE6__halfEvS1_PT2_lllS2_IjLj3EElll.uses_flat_scratch, 0
	.set _ZL16dequantize_blockILi128ELi1EXadL_ZL15dequantize_q1_0PKvliR15HIP_vector_typeIfLj2EEEE6__halfEvS1_PT2_lllS2_IjLj3EElll.has_dyn_sized_stack, 0
	.set _ZL16dequantize_blockILi128ELi1EXadL_ZL15dequantize_q1_0PKvliR15HIP_vector_typeIfLj2EEEE6__halfEvS1_PT2_lllS2_IjLj3EElll.has_recursion, 0
	.set _ZL16dequantize_blockILi128ELi1EXadL_ZL15dequantize_q1_0PKvliR15HIP_vector_typeIfLj2EEEE6__halfEvS1_PT2_lllS2_IjLj3EElll.has_indirect_call, 0
	.section	.AMDGPU.csdata,"",@progbits
; Kernel info:
; codeLenInByte = 772
; TotalNumSgprs: 48
; NumVgprs: 16
; ScratchSize: 0
; MemoryBound: 0
; FloatMode: 240
; IeeeMode: 1
; LDSByteSize: 0 bytes/workgroup (compile time only)
; SGPRBlocks: 0
; VGPRBlocks: 0
; NumSGPRsForWavesPerEU: 48
; NumVGPRsForWavesPerEU: 16
; NamedBarCnt: 0
; Occupancy: 16
; WaveLimiterHint : 0
; COMPUTE_PGM_RSRC2:SCRATCH_EN: 0
; COMPUTE_PGM_RSRC2:USER_SGPR: 2
; COMPUTE_PGM_RSRC2:TRAP_HANDLER: 0
; COMPUTE_PGM_RSRC2:TGID_X_EN: 1
; COMPUTE_PGM_RSRC2:TGID_Y_EN: 1
; COMPUTE_PGM_RSRC2:TGID_Z_EN: 1
; COMPUTE_PGM_RSRC2:TIDIG_COMP_CNT: 0
	.section	.text._ZL16dequantize_blockILi32ELi2EXadL_ZL15dequantize_q4_0PKvliR15HIP_vector_typeIfLj2EEEE6__halfEvS1_PT2_lllS2_IjLj3EElll,"axG",@progbits,_ZL16dequantize_blockILi32ELi2EXadL_ZL15dequantize_q4_0PKvliR15HIP_vector_typeIfLj2EEEE6__halfEvS1_PT2_lllS2_IjLj3EElll,comdat
	.globl	_ZL16dequantize_blockILi32ELi2EXadL_ZL15dequantize_q4_0PKvliR15HIP_vector_typeIfLj2EEEE6__halfEvS1_PT2_lllS2_IjLj3EElll ; -- Begin function _ZL16dequantize_blockILi32ELi2EXadL_ZL15dequantize_q4_0PKvliR15HIP_vector_typeIfLj2EEEE6__halfEvS1_PT2_lllS2_IjLj3EElll
	.p2align	8
	.type	_ZL16dequantize_blockILi32ELi2EXadL_ZL15dequantize_q4_0PKvliR15HIP_vector_typeIfLj2EEEE6__halfEvS1_PT2_lllS2_IjLj3EElll,@function
_ZL16dequantize_blockILi32ELi2EXadL_ZL15dequantize_q4_0PKvliR15HIP_vector_typeIfLj2EEEE6__halfEvS1_PT2_lllS2_IjLj3EElll: ; @_ZL16dequantize_blockILi32ELi2EXadL_ZL15dequantize_q4_0PKvliR15HIP_vector_typeIfLj2EEEE6__halfEvS1_PT2_lllS2_IjLj3EElll
; %bb.0:
	s_load_b32 s2, s[0:1], 0x5c
	s_bfe_u32 s3, ttmp6, 0x4000c
	s_and_b32 s4, ttmp6, 15
	s_add_co_i32 s3, s3, 1
	s_getreg_b32 s12, hwreg(HW_REG_IB_STS2, 6, 4)
	s_mul_i32 s3, ttmp9, s3
	v_mov_b32_e32 v1, 0
	s_add_co_i32 s3, s4, s3
	s_load_b128 s[4:7], s[0:1], 0x10
	s_wait_kmcnt 0x0
	s_and_b32 s2, s2, 0xffff
	s_cmp_eq_u32 s12, 0
	s_cselect_b32 s3, ttmp9, s3
	s_delay_alu instid0(SALU_CYCLE_1) | instskip(SKIP_2) | instid1(VALU_DEP_1)
	v_mad_nc_u64_u32 v[2:3], s2, s3, v[0:1]
	s_mov_b32 s3, 0
	s_mov_b32 s2, exec_lo
	v_lshlrev_b64_e32 v[0:1], 1, v[2:3]
	s_delay_alu instid0(VALU_DEP_1)
	v_cmpx_gt_i64_e64 s[4:5], v[0:1]
	s_cbranch_execz .LBB40_7
; %bb.1:
	s_bfe_u32 s2, ttmp6, 0x40010
	s_load_b64 s[20:21], s[0:1], 0x20
	s_and_b32 s8, ttmp7, 0xffff
	s_add_co_i32 s2, s2, 1
	s_bfe_u32 s9, ttmp6, 0x40004
	s_mul_i32 s2, s8, s2
	s_delay_alu instid0(SALU_CYCLE_1) | instskip(SKIP_2) | instid1(SALU_CYCLE_1)
	s_add_co_i32 s9, s9, s2
	s_cmp_eq_u32 s12, 0
	s_cselect_b32 s2, s8, s9
	v_cmp_le_i64_e64 s8, s[6:7], s[2:3]
	s_and_b32 vcc_lo, exec_lo, s8
	s_cbranch_vccnz .LBB40_7
; %bb.2:
	s_bfe_u32 s8, ttmp6, 0x40014
	s_lshr_b32 s13, ttmp7, 16
	s_add_co_i32 s8, s8, 1
	v_lshrrev_b64 v[0:1], 4, v[2:3]
	s_mul_i32 s14, s13, s8
	s_bfe_u32 s15, ttmp6, 0x40008
	s_mov_b32 s25, 0
	s_add_co_i32 s15, s15, s14
	s_cmp_eq_u32 s12, 0
	s_clause 0x1
	s_load_b128 s[8:11], s[0:1], 0x0
	s_load_b96 s[16:18], s[0:1], 0x28
	s_cselect_b32 s24, s13, s15
	v_lshlrev_b64_e32 v[4:5], 6, v[0:1]
	s_mul_u64 s[12:13], s[6:7], s[24:25]
	v_dual_mov_b32 v3, 0 :: v_dual_bitop2_b32 v2, 15, v2 bitop3:0x40
	s_add_nc_u64 s[12:13], s[12:13], s[2:3]
	s_add_nc_u64 s[22:23], s[0:1], 0x50
	s_mul_u64 s[12:13], s[4:5], s[12:13]
	s_delay_alu instid0(VALU_DEP_1)
	v_dual_mov_b32 v7, v3 :: v_dual_lshlrev_b32 v6, 1, v2
	v_lshl_add_u64 v[4:5], s[12:13], 1, v[4:5]
	s_load_b32 s26, s[22:23], 0x4
	s_clause 0x1
	s_load_b128 s[12:15], s[0:1], 0x38
	s_load_b64 s[28:29], s[0:1], 0x48
	s_mov_b32 s27, s25
	s_mul_u64 s[34:35], s[6:7], s[4:5]
	v_add_nc_u64_e32 v[4:5], v[4:5], v[6:7]
	s_wait_xcnt 0x0
	s_mov_b32 s1, s25
	s_lshl_b64 s[34:35], s[34:35], 1
	s_wait_kmcnt 0x0
	s_mov_b32 s0, s16
	v_cmp_gt_i64_e64 s16, s[20:21], s[24:25]
	s_sub_co_i32 s33, 0, s18
	v_add_nc_u64_e32 v[4:5], s[10:11], v[4:5]
	s_mov_b64 s[10:11], s[24:25]
	s_delay_alu instid0(VALU_DEP_1)
	v_add_nc_u64_e32 v[4:5], 32, v[4:5]
	s_mul_u64 s[30:31], s[4:5], s[26:27]
	s_mov_b64 s[4:5], 0xffffffff
	s_lshl_b64 s[30:31], s[30:31], 1
	s_branch .LBB40_4
.LBB40_3:                               ;   in Loop: Header=BB40_4 Depth=1
	s_add_nc_u64 s[2:3], s[2:3], s[26:27]
	v_add_nc_u64_e32 v[4:5], s[30:31], v[4:5]
	v_cmp_ge_i64_e64 s18, s[2:3], s[6:7]
	s_and_b32 vcc_lo, exec_lo, s18
	s_cbranch_vccnz .LBB40_7
.LBB40_4:                               ; =>This Loop Header: Depth=1
                                        ;     Child Loop BB40_6 Depth 2
	s_and_not1_b32 vcc_lo, exec_lo, s16
	s_cbranch_vccnz .LBB40_3
; %bb.5:                                ;   in Loop: Header=BB40_4 Depth=1
	s_load_b32 s18, s[22:23], 0x8
	v_mov_b64_e32 v[6:7], v[4:5]
	s_mul_u64 s[36:37], s[2:3], s[12:13]
	s_mov_b32 s19, s25
	s_mul_u64 s[36:37], s[36:37], 18
	s_mov_b64 s[40:41], s[10:11]
	s_wait_kmcnt 0x0
	s_mul_u64 s[38:39], s[34:35], s[18:19]
.LBB40_6:                               ;   Parent Loop BB40_4 Depth=1
                                        ; =>  This Inner Loop Header: Depth=2
	s_and_b64 s[42:43], s[40:41], s[4:5]
	s_mov_b32 s45, s25
	s_mul_u64 s[42:43], s[0:1], s[42:43]
	s_delay_alu instid0(SALU_CYCLE_1) | instskip(NEXT) | instid1(SALU_CYCLE_1)
	s_add_co_i32 s24, s40, s43
	s_lshr_b32 s44, s24, s17
	s_delay_alu instid0(SALU_CYCLE_1)
	s_mul_i32 s24, s33, s44
	s_mul_u64 s[42:43], s[28:29], s[44:45]
	s_add_co_i32 s24, s40, s24
	s_mul_u64 s[42:43], s[42:43], 18
	s_mul_u64 s[44:45], s[14:15], s[24:25]
	s_add_nc_u64 s[42:43], s[8:9], s[42:43]
	s_mul_u64 s[44:45], s[44:45], 18
	s_add_nc_u64 s[40:41], s[40:41], s[18:19]
	s_add_nc_u64 s[42:43], s[42:43], s[44:45]
	v_cmp_ge_i64_e64 s24, s[40:41], s[20:21]
	s_add_nc_u64 s[42:43], s[42:43], s[36:37]
	s_delay_alu instid0(SALU_CYCLE_1) | instskip(SKIP_1) | instid1(VALU_DEP_1)
	v_mad_nc_u64_u32 v[8:9], v0, 18, s[42:43]
	s_and_b32 vcc_lo, exec_lo, s24
	v_mad_u32 v9, v1, 18, v9
	s_delay_alu instid0(VALU_DEP_1)
	v_add_nc_u64_e32 v[10:11], v[8:9], v[2:3]
	s_clause 0x1
	global_load_u16 v12, v[8:9], off
	global_load_u8 v13, v[10:11], off offset:2
	s_wait_loadcnt 0x0
	s_wait_xcnt 0x1
	v_dual_lshrrev_b32 v9, 4, v13 :: v_dual_bitop2_b32 v8, 15, v13 bitop3:0x40
	s_delay_alu instid0(VALU_DEP_1) | instskip(NEXT) | instid1(VALU_DEP_1)
	v_dual_add_nc_u32 v8, -8, v8 :: v_dual_add_nc_u32 v9, -8, v9
	v_cvt_f32_i32_e32 v8, v8
	s_delay_alu instid0(VALU_DEP_2) | instskip(NEXT) | instid1(VALU_DEP_2)
	v_cvt_f32_i32_e32 v9, v9
	v_fma_mixlo_f16 v8, v12, v8, 0 op_sel_hi:[1,0,0]
	s_delay_alu instid0(VALU_DEP_2)
	v_fma_mixlo_f16 v9, v12, v9, 0 op_sel_hi:[1,0,0]
	s_clause 0x1
	global_store_b16 v[6:7], v8, off offset:-32
	global_store_b16 v[6:7], v9, off
	s_wait_xcnt 0x0
	v_add_nc_u64_e32 v[6:7], s[38:39], v[6:7]
	s_cbranch_vccz .LBB40_6
	s_branch .LBB40_3
.LBB40_7:
	s_endpgm
	.section	.rodata,"a",@progbits
	.p2align	6, 0x0
	.amdhsa_kernel _ZL16dequantize_blockILi32ELi2EXadL_ZL15dequantize_q4_0PKvliR15HIP_vector_typeIfLj2EEEE6__halfEvS1_PT2_lllS2_IjLj3EElll
		.amdhsa_group_segment_fixed_size 0
		.amdhsa_private_segment_fixed_size 0
		.amdhsa_kernarg_size 336
		.amdhsa_user_sgpr_count 2
		.amdhsa_user_sgpr_dispatch_ptr 0
		.amdhsa_user_sgpr_queue_ptr 0
		.amdhsa_user_sgpr_kernarg_segment_ptr 1
		.amdhsa_user_sgpr_dispatch_id 0
		.amdhsa_user_sgpr_kernarg_preload_length 0
		.amdhsa_user_sgpr_kernarg_preload_offset 0
		.amdhsa_user_sgpr_private_segment_size 0
		.amdhsa_wavefront_size32 1
		.amdhsa_uses_dynamic_stack 0
		.amdhsa_enable_private_segment 0
		.amdhsa_system_sgpr_workgroup_id_x 1
		.amdhsa_system_sgpr_workgroup_id_y 1
		.amdhsa_system_sgpr_workgroup_id_z 1
		.amdhsa_system_sgpr_workgroup_info 0
		.amdhsa_system_vgpr_workitem_id 0
		.amdhsa_next_free_vgpr 14
		.amdhsa_next_free_sgpr 46
		.amdhsa_named_barrier_count 0
		.amdhsa_reserve_vcc 1
		.amdhsa_float_round_mode_32 0
		.amdhsa_float_round_mode_16_64 0
		.amdhsa_float_denorm_mode_32 3
		.amdhsa_float_denorm_mode_16_64 3
		.amdhsa_fp16_overflow 0
		.amdhsa_memory_ordered 1
		.amdhsa_forward_progress 1
		.amdhsa_inst_pref_size 6
		.amdhsa_round_robin_scheduling 0
		.amdhsa_exception_fp_ieee_invalid_op 0
		.amdhsa_exception_fp_denorm_src 0
		.amdhsa_exception_fp_ieee_div_zero 0
		.amdhsa_exception_fp_ieee_overflow 0
		.amdhsa_exception_fp_ieee_underflow 0
		.amdhsa_exception_fp_ieee_inexact 0
		.amdhsa_exception_int_div_zero 0
	.end_amdhsa_kernel
	.section	.text._ZL16dequantize_blockILi32ELi2EXadL_ZL15dequantize_q4_0PKvliR15HIP_vector_typeIfLj2EEEE6__halfEvS1_PT2_lllS2_IjLj3EElll,"axG",@progbits,_ZL16dequantize_blockILi32ELi2EXadL_ZL15dequantize_q4_0PKvliR15HIP_vector_typeIfLj2EEEE6__halfEvS1_PT2_lllS2_IjLj3EElll,comdat
.Lfunc_end40:
	.size	_ZL16dequantize_blockILi32ELi2EXadL_ZL15dequantize_q4_0PKvliR15HIP_vector_typeIfLj2EEEE6__halfEvS1_PT2_lllS2_IjLj3EElll, .Lfunc_end40-_ZL16dequantize_blockILi32ELi2EXadL_ZL15dequantize_q4_0PKvliR15HIP_vector_typeIfLj2EEEE6__halfEvS1_PT2_lllS2_IjLj3EElll
                                        ; -- End function
	.set _ZL16dequantize_blockILi32ELi2EXadL_ZL15dequantize_q4_0PKvliR15HIP_vector_typeIfLj2EEEE6__halfEvS1_PT2_lllS2_IjLj3EElll.num_vgpr, 14
	.set _ZL16dequantize_blockILi32ELi2EXadL_ZL15dequantize_q4_0PKvliR15HIP_vector_typeIfLj2EEEE6__halfEvS1_PT2_lllS2_IjLj3EElll.num_agpr, 0
	.set _ZL16dequantize_blockILi32ELi2EXadL_ZL15dequantize_q4_0PKvliR15HIP_vector_typeIfLj2EEEE6__halfEvS1_PT2_lllS2_IjLj3EElll.numbered_sgpr, 46
	.set _ZL16dequantize_blockILi32ELi2EXadL_ZL15dequantize_q4_0PKvliR15HIP_vector_typeIfLj2EEEE6__halfEvS1_PT2_lllS2_IjLj3EElll.num_named_barrier, 0
	.set _ZL16dequantize_blockILi32ELi2EXadL_ZL15dequantize_q4_0PKvliR15HIP_vector_typeIfLj2EEEE6__halfEvS1_PT2_lllS2_IjLj3EElll.private_seg_size, 0
	.set _ZL16dequantize_blockILi32ELi2EXadL_ZL15dequantize_q4_0PKvliR15HIP_vector_typeIfLj2EEEE6__halfEvS1_PT2_lllS2_IjLj3EElll.uses_vcc, 1
	.set _ZL16dequantize_blockILi32ELi2EXadL_ZL15dequantize_q4_0PKvliR15HIP_vector_typeIfLj2EEEE6__halfEvS1_PT2_lllS2_IjLj3EElll.uses_flat_scratch, 0
	.set _ZL16dequantize_blockILi32ELi2EXadL_ZL15dequantize_q4_0PKvliR15HIP_vector_typeIfLj2EEEE6__halfEvS1_PT2_lllS2_IjLj3EElll.has_dyn_sized_stack, 0
	.set _ZL16dequantize_blockILi32ELi2EXadL_ZL15dequantize_q4_0PKvliR15HIP_vector_typeIfLj2EEEE6__halfEvS1_PT2_lllS2_IjLj3EElll.has_recursion, 0
	.set _ZL16dequantize_blockILi32ELi2EXadL_ZL15dequantize_q4_0PKvliR15HIP_vector_typeIfLj2EEEE6__halfEvS1_PT2_lllS2_IjLj3EElll.has_indirect_call, 0
	.section	.AMDGPU.csdata,"",@progbits
; Kernel info:
; codeLenInByte = 736
; TotalNumSgprs: 48
; NumVgprs: 14
; ScratchSize: 0
; MemoryBound: 0
; FloatMode: 240
; IeeeMode: 1
; LDSByteSize: 0 bytes/workgroup (compile time only)
; SGPRBlocks: 0
; VGPRBlocks: 0
; NumSGPRsForWavesPerEU: 48
; NumVGPRsForWavesPerEU: 14
; NamedBarCnt: 0
; Occupancy: 16
; WaveLimiterHint : 0
; COMPUTE_PGM_RSRC2:SCRATCH_EN: 0
; COMPUTE_PGM_RSRC2:USER_SGPR: 2
; COMPUTE_PGM_RSRC2:TRAP_HANDLER: 0
; COMPUTE_PGM_RSRC2:TGID_X_EN: 1
; COMPUTE_PGM_RSRC2:TGID_Y_EN: 1
; COMPUTE_PGM_RSRC2:TGID_Z_EN: 1
; COMPUTE_PGM_RSRC2:TIDIG_COMP_CNT: 0
	.section	.text._ZL16dequantize_blockILi32ELi2EXadL_ZL15dequantize_q4_1PKvliR15HIP_vector_typeIfLj2EEEE6__halfEvS1_PT2_lllS2_IjLj3EElll,"axG",@progbits,_ZL16dequantize_blockILi32ELi2EXadL_ZL15dequantize_q4_1PKvliR15HIP_vector_typeIfLj2EEEE6__halfEvS1_PT2_lllS2_IjLj3EElll,comdat
	.globl	_ZL16dequantize_blockILi32ELi2EXadL_ZL15dequantize_q4_1PKvliR15HIP_vector_typeIfLj2EEEE6__halfEvS1_PT2_lllS2_IjLj3EElll ; -- Begin function _ZL16dequantize_blockILi32ELi2EXadL_ZL15dequantize_q4_1PKvliR15HIP_vector_typeIfLj2EEEE6__halfEvS1_PT2_lllS2_IjLj3EElll
	.p2align	8
	.type	_ZL16dequantize_blockILi32ELi2EXadL_ZL15dequantize_q4_1PKvliR15HIP_vector_typeIfLj2EEEE6__halfEvS1_PT2_lllS2_IjLj3EElll,@function
_ZL16dequantize_blockILi32ELi2EXadL_ZL15dequantize_q4_1PKvliR15HIP_vector_typeIfLj2EEEE6__halfEvS1_PT2_lllS2_IjLj3EElll: ; @_ZL16dequantize_blockILi32ELi2EXadL_ZL15dequantize_q4_1PKvliR15HIP_vector_typeIfLj2EEEE6__halfEvS1_PT2_lllS2_IjLj3EElll
; %bb.0:
	s_load_b32 s2, s[0:1], 0x5c
	s_bfe_u32 s3, ttmp6, 0x4000c
	s_and_b32 s4, ttmp6, 15
	s_add_co_i32 s3, s3, 1
	s_getreg_b32 s12, hwreg(HW_REG_IB_STS2, 6, 4)
	s_mul_i32 s3, ttmp9, s3
	v_mov_b32_e32 v1, 0
	s_add_co_i32 s3, s4, s3
	s_load_b128 s[4:7], s[0:1], 0x10
	s_wait_kmcnt 0x0
	s_and_b32 s2, s2, 0xffff
	s_cmp_eq_u32 s12, 0
	s_cselect_b32 s3, ttmp9, s3
	s_delay_alu instid0(SALU_CYCLE_1) | instskip(SKIP_2) | instid1(VALU_DEP_1)
	v_mad_nc_u64_u32 v[2:3], s2, s3, v[0:1]
	s_mov_b32 s3, 0
	s_mov_b32 s2, exec_lo
	v_lshlrev_b64_e32 v[0:1], 1, v[2:3]
	s_delay_alu instid0(VALU_DEP_1)
	v_cmpx_gt_i64_e64 s[4:5], v[0:1]
	s_cbranch_execz .LBB41_7
; %bb.1:
	s_bfe_u32 s2, ttmp6, 0x40010
	s_load_b64 s[20:21], s[0:1], 0x20
	s_and_b32 s8, ttmp7, 0xffff
	s_add_co_i32 s2, s2, 1
	s_bfe_u32 s9, ttmp6, 0x40004
	s_mul_i32 s2, s8, s2
	s_delay_alu instid0(SALU_CYCLE_1) | instskip(SKIP_2) | instid1(SALU_CYCLE_1)
	s_add_co_i32 s9, s9, s2
	s_cmp_eq_u32 s12, 0
	s_cselect_b32 s2, s8, s9
	v_cmp_le_i64_e64 s8, s[6:7], s[2:3]
	s_and_b32 vcc_lo, exec_lo, s8
	s_cbranch_vccnz .LBB41_7
; %bb.2:
	s_bfe_u32 s8, ttmp6, 0x40014
	s_lshr_b32 s13, ttmp7, 16
	s_add_co_i32 s8, s8, 1
	v_lshrrev_b64 v[0:1], 4, v[2:3]
	s_mul_i32 s14, s13, s8
	s_bfe_u32 s15, ttmp6, 0x40008
	s_mov_b32 s25, 0
	s_add_co_i32 s15, s15, s14
	s_cmp_eq_u32 s12, 0
	s_clause 0x1
	s_load_b128 s[8:11], s[0:1], 0x0
	s_load_b96 s[16:18], s[0:1], 0x28
	s_cselect_b32 s24, s13, s15
	v_lshlrev_b64_e32 v[4:5], 6, v[0:1]
	s_mul_u64 s[12:13], s[6:7], s[24:25]
	v_dual_mov_b32 v3, 0 :: v_dual_bitop2_b32 v2, 15, v2 bitop3:0x40
	s_add_nc_u64 s[12:13], s[12:13], s[2:3]
	s_add_nc_u64 s[22:23], s[0:1], 0x50
	s_mul_u64 s[12:13], s[4:5], s[12:13]
	s_delay_alu instid0(VALU_DEP_1)
	v_dual_mov_b32 v7, v3 :: v_dual_lshlrev_b32 v6, 1, v2
	v_lshl_add_u64 v[4:5], s[12:13], 1, v[4:5]
	s_load_b32 s26, s[22:23], 0x4
	s_clause 0x1
	s_load_b128 s[12:15], s[0:1], 0x38
	s_load_b64 s[28:29], s[0:1], 0x48
	s_mov_b32 s27, s25
	s_mul_u64 s[34:35], s[6:7], s[4:5]
	v_add_nc_u64_e32 v[4:5], v[4:5], v[6:7]
	s_wait_xcnt 0x0
	s_mov_b32 s1, s25
	s_lshl_b64 s[34:35], s[34:35], 1
	s_wait_kmcnt 0x0
	s_mov_b32 s0, s16
	v_cmp_gt_i64_e64 s16, s[20:21], s[24:25]
	s_sub_co_i32 s33, 0, s18
	v_add_nc_u64_e32 v[4:5], s[10:11], v[4:5]
	s_mov_b64 s[10:11], s[24:25]
	s_delay_alu instid0(VALU_DEP_1)
	v_add_nc_u64_e32 v[4:5], 32, v[4:5]
	s_mul_u64 s[30:31], s[4:5], s[26:27]
	s_mov_b64 s[4:5], 0xffffffff
	s_lshl_b64 s[30:31], s[30:31], 1
	s_branch .LBB41_4
.LBB41_3:                               ;   in Loop: Header=BB41_4 Depth=1
	s_add_nc_u64 s[2:3], s[2:3], s[26:27]
	v_add_nc_u64_e32 v[4:5], s[30:31], v[4:5]
	v_cmp_ge_i64_e64 s18, s[2:3], s[6:7]
	s_and_b32 vcc_lo, exec_lo, s18
	s_cbranch_vccnz .LBB41_7
.LBB41_4:                               ; =>This Loop Header: Depth=1
                                        ;     Child Loop BB41_6 Depth 2
	s_and_not1_b32 vcc_lo, exec_lo, s16
	s_cbranch_vccnz .LBB41_3
; %bb.5:                                ;   in Loop: Header=BB41_4 Depth=1
	s_load_b32 s18, s[22:23], 0x8
	v_mov_b64_e32 v[6:7], v[4:5]
	s_mul_u64 s[36:37], s[2:3], s[12:13]
	s_mov_b32 s19, s25
	s_mul_u64 s[36:37], s[36:37], 20
	s_mov_b64 s[40:41], s[10:11]
	s_wait_kmcnt 0x0
	s_mul_u64 s[38:39], s[34:35], s[18:19]
.LBB41_6:                               ;   Parent Loop BB41_4 Depth=1
                                        ; =>  This Inner Loop Header: Depth=2
	s_and_b64 s[42:43], s[40:41], s[4:5]
	s_mov_b32 s45, s25
	s_mul_u64 s[42:43], s[0:1], s[42:43]
	s_delay_alu instid0(SALU_CYCLE_1) | instskip(NEXT) | instid1(SALU_CYCLE_1)
	s_add_co_i32 s24, s40, s43
	s_lshr_b32 s44, s24, s17
	s_delay_alu instid0(SALU_CYCLE_1)
	s_mul_i32 s24, s33, s44
	s_mul_u64 s[42:43], s[28:29], s[44:45]
	s_add_co_i32 s24, s40, s24
	s_mul_u64 s[42:43], s[42:43], 20
	s_mul_u64 s[44:45], s[14:15], s[24:25]
	s_add_nc_u64 s[42:43], s[8:9], s[42:43]
	s_mul_u64 s[44:45], s[44:45], 20
	s_add_nc_u64 s[40:41], s[40:41], s[18:19]
	s_add_nc_u64 s[42:43], s[42:43], s[44:45]
	v_cmp_ge_i64_e64 s24, s[40:41], s[20:21]
	s_add_nc_u64 s[42:43], s[42:43], s[36:37]
	s_delay_alu instid0(SALU_CYCLE_1) | instskip(SKIP_1) | instid1(VALU_DEP_1)
	v_mad_nc_u64_u32 v[8:9], v0, 20, s[42:43]
	s_and_b32 vcc_lo, exec_lo, s24
	v_mad_u32 v9, v1, 20, v9
	s_delay_alu instid0(VALU_DEP_1)
	v_add_nc_u64_e32 v[10:11], v[8:9], v[2:3]
	s_clause 0x1
	global_load_b32 v12, v[8:9], off
	global_load_u8 v13, v[10:11], off offset:4
	s_wait_loadcnt 0x0
	s_wait_xcnt 0x1
	v_dual_lshrrev_b32 v9, 4, v13 :: v_dual_bitop2_b32 v8, 15, v13 bitop3:0x40
	s_delay_alu instid0(VALU_DEP_1) | instskip(NEXT) | instid1(VALU_DEP_2)
	v_cvt_f32_ubyte0_e32 v8, v8
	v_cvt_f32_ubyte0_e32 v9, v9
	s_delay_alu instid0(VALU_DEP_2) | instskip(NEXT) | instid1(VALU_DEP_2)
	v_fma_mixlo_f16 v8, v12, v8, v12 op_sel:[0,0,1] op_sel_hi:[1,0,1]
	v_fma_mixlo_f16 v9, v12, v9, v12 op_sel:[0,0,1] op_sel_hi:[1,0,1]
	s_clause 0x1
	global_store_b16 v[6:7], v8, off offset:-32
	global_store_b16 v[6:7], v9, off
	s_wait_xcnt 0x0
	v_add_nc_u64_e32 v[6:7], s[38:39], v[6:7]
	s_cbranch_vccz .LBB41_6
	s_branch .LBB41_3
.LBB41_7:
	s_endpgm
	.section	.rodata,"a",@progbits
	.p2align	6, 0x0
	.amdhsa_kernel _ZL16dequantize_blockILi32ELi2EXadL_ZL15dequantize_q4_1PKvliR15HIP_vector_typeIfLj2EEEE6__halfEvS1_PT2_lllS2_IjLj3EElll
		.amdhsa_group_segment_fixed_size 0
		.amdhsa_private_segment_fixed_size 0
		.amdhsa_kernarg_size 336
		.amdhsa_user_sgpr_count 2
		.amdhsa_user_sgpr_dispatch_ptr 0
		.amdhsa_user_sgpr_queue_ptr 0
		.amdhsa_user_sgpr_kernarg_segment_ptr 1
		.amdhsa_user_sgpr_dispatch_id 0
		.amdhsa_user_sgpr_kernarg_preload_length 0
		.amdhsa_user_sgpr_kernarg_preload_offset 0
		.amdhsa_user_sgpr_private_segment_size 0
		.amdhsa_wavefront_size32 1
		.amdhsa_uses_dynamic_stack 0
		.amdhsa_enable_private_segment 0
		.amdhsa_system_sgpr_workgroup_id_x 1
		.amdhsa_system_sgpr_workgroup_id_y 1
		.amdhsa_system_sgpr_workgroup_id_z 1
		.amdhsa_system_sgpr_workgroup_info 0
		.amdhsa_system_vgpr_workitem_id 0
		.amdhsa_next_free_vgpr 14
		.amdhsa_next_free_sgpr 46
		.amdhsa_named_barrier_count 0
		.amdhsa_reserve_vcc 1
		.amdhsa_float_round_mode_32 0
		.amdhsa_float_round_mode_16_64 0
		.amdhsa_float_denorm_mode_32 3
		.amdhsa_float_denorm_mode_16_64 3
		.amdhsa_fp16_overflow 0
		.amdhsa_memory_ordered 1
		.amdhsa_forward_progress 1
		.amdhsa_inst_pref_size 6
		.amdhsa_round_robin_scheduling 0
		.amdhsa_exception_fp_ieee_invalid_op 0
		.amdhsa_exception_fp_denorm_src 0
		.amdhsa_exception_fp_ieee_div_zero 0
		.amdhsa_exception_fp_ieee_overflow 0
		.amdhsa_exception_fp_ieee_underflow 0
		.amdhsa_exception_fp_ieee_inexact 0
		.amdhsa_exception_int_div_zero 0
	.end_amdhsa_kernel
	.section	.text._ZL16dequantize_blockILi32ELi2EXadL_ZL15dequantize_q4_1PKvliR15HIP_vector_typeIfLj2EEEE6__halfEvS1_PT2_lllS2_IjLj3EElll,"axG",@progbits,_ZL16dequantize_blockILi32ELi2EXadL_ZL15dequantize_q4_1PKvliR15HIP_vector_typeIfLj2EEEE6__halfEvS1_PT2_lllS2_IjLj3EElll,comdat
.Lfunc_end41:
	.size	_ZL16dequantize_blockILi32ELi2EXadL_ZL15dequantize_q4_1PKvliR15HIP_vector_typeIfLj2EEEE6__halfEvS1_PT2_lllS2_IjLj3EElll, .Lfunc_end41-_ZL16dequantize_blockILi32ELi2EXadL_ZL15dequantize_q4_1PKvliR15HIP_vector_typeIfLj2EEEE6__halfEvS1_PT2_lllS2_IjLj3EElll
                                        ; -- End function
	.set _ZL16dequantize_blockILi32ELi2EXadL_ZL15dequantize_q4_1PKvliR15HIP_vector_typeIfLj2EEEE6__halfEvS1_PT2_lllS2_IjLj3EElll.num_vgpr, 14
	.set _ZL16dequantize_blockILi32ELi2EXadL_ZL15dequantize_q4_1PKvliR15HIP_vector_typeIfLj2EEEE6__halfEvS1_PT2_lllS2_IjLj3EElll.num_agpr, 0
	.set _ZL16dequantize_blockILi32ELi2EXadL_ZL15dequantize_q4_1PKvliR15HIP_vector_typeIfLj2EEEE6__halfEvS1_PT2_lllS2_IjLj3EElll.numbered_sgpr, 46
	.set _ZL16dequantize_blockILi32ELi2EXadL_ZL15dequantize_q4_1PKvliR15HIP_vector_typeIfLj2EEEE6__halfEvS1_PT2_lllS2_IjLj3EElll.num_named_barrier, 0
	.set _ZL16dequantize_blockILi32ELi2EXadL_ZL15dequantize_q4_1PKvliR15HIP_vector_typeIfLj2EEEE6__halfEvS1_PT2_lllS2_IjLj3EElll.private_seg_size, 0
	.set _ZL16dequantize_blockILi32ELi2EXadL_ZL15dequantize_q4_1PKvliR15HIP_vector_typeIfLj2EEEE6__halfEvS1_PT2_lllS2_IjLj3EElll.uses_vcc, 1
	.set _ZL16dequantize_blockILi32ELi2EXadL_ZL15dequantize_q4_1PKvliR15HIP_vector_typeIfLj2EEEE6__halfEvS1_PT2_lllS2_IjLj3EElll.uses_flat_scratch, 0
	.set _ZL16dequantize_blockILi32ELi2EXadL_ZL15dequantize_q4_1PKvliR15HIP_vector_typeIfLj2EEEE6__halfEvS1_PT2_lllS2_IjLj3EElll.has_dyn_sized_stack, 0
	.set _ZL16dequantize_blockILi32ELi2EXadL_ZL15dequantize_q4_1PKvliR15HIP_vector_typeIfLj2EEEE6__halfEvS1_PT2_lllS2_IjLj3EElll.has_recursion, 0
	.set _ZL16dequantize_blockILi32ELi2EXadL_ZL15dequantize_q4_1PKvliR15HIP_vector_typeIfLj2EEEE6__halfEvS1_PT2_lllS2_IjLj3EElll.has_indirect_call, 0
	.section	.AMDGPU.csdata,"",@progbits
; Kernel info:
; codeLenInByte = 720
; TotalNumSgprs: 48
; NumVgprs: 14
; ScratchSize: 0
; MemoryBound: 0
; FloatMode: 240
; IeeeMode: 1
; LDSByteSize: 0 bytes/workgroup (compile time only)
; SGPRBlocks: 0
; VGPRBlocks: 0
; NumSGPRsForWavesPerEU: 48
; NumVGPRsForWavesPerEU: 14
; NamedBarCnt: 0
; Occupancy: 16
; WaveLimiterHint : 0
; COMPUTE_PGM_RSRC2:SCRATCH_EN: 0
; COMPUTE_PGM_RSRC2:USER_SGPR: 2
; COMPUTE_PGM_RSRC2:TRAP_HANDLER: 0
; COMPUTE_PGM_RSRC2:TGID_X_EN: 1
; COMPUTE_PGM_RSRC2:TGID_Y_EN: 1
; COMPUTE_PGM_RSRC2:TGID_Z_EN: 1
; COMPUTE_PGM_RSRC2:TIDIG_COMP_CNT: 0
	.section	.text._ZL16dequantize_blockILi32ELi2EXadL_ZL15dequantize_q5_0PKvliR15HIP_vector_typeIfLj2EEEE6__halfEvS1_PT2_lllS2_IjLj3EElll,"axG",@progbits,_ZL16dequantize_blockILi32ELi2EXadL_ZL15dequantize_q5_0PKvliR15HIP_vector_typeIfLj2EEEE6__halfEvS1_PT2_lllS2_IjLj3EElll,comdat
	.globl	_ZL16dequantize_blockILi32ELi2EXadL_ZL15dequantize_q5_0PKvliR15HIP_vector_typeIfLj2EEEE6__halfEvS1_PT2_lllS2_IjLj3EElll ; -- Begin function _ZL16dequantize_blockILi32ELi2EXadL_ZL15dequantize_q5_0PKvliR15HIP_vector_typeIfLj2EEEE6__halfEvS1_PT2_lllS2_IjLj3EElll
	.p2align	8
	.type	_ZL16dequantize_blockILi32ELi2EXadL_ZL15dequantize_q5_0PKvliR15HIP_vector_typeIfLj2EEEE6__halfEvS1_PT2_lllS2_IjLj3EElll,@function
_ZL16dequantize_blockILi32ELi2EXadL_ZL15dequantize_q5_0PKvliR15HIP_vector_typeIfLj2EEEE6__halfEvS1_PT2_lllS2_IjLj3EElll: ; @_ZL16dequantize_blockILi32ELi2EXadL_ZL15dequantize_q5_0PKvliR15HIP_vector_typeIfLj2EEEE6__halfEvS1_PT2_lllS2_IjLj3EElll
; %bb.0:
	s_load_b32 s2, s[0:1], 0x5c
	s_bfe_u32 s3, ttmp6, 0x4000c
	s_and_b32 s4, ttmp6, 15
	s_add_co_i32 s3, s3, 1
	s_getreg_b32 s12, hwreg(HW_REG_IB_STS2, 6, 4)
	s_mul_i32 s3, ttmp9, s3
	v_mov_b32_e32 v1, 0
	s_add_co_i32 s3, s4, s3
	s_load_b128 s[4:7], s[0:1], 0x10
	s_wait_kmcnt 0x0
	s_and_b32 s2, s2, 0xffff
	s_cmp_eq_u32 s12, 0
	s_cselect_b32 s3, ttmp9, s3
	s_delay_alu instid0(SALU_CYCLE_1) | instskip(SKIP_2) | instid1(VALU_DEP_1)
	v_mad_nc_u64_u32 v[2:3], s2, s3, v[0:1]
	s_mov_b32 s3, 0
	s_mov_b32 s2, exec_lo
	v_lshlrev_b64_e32 v[0:1], 1, v[2:3]
	s_delay_alu instid0(VALU_DEP_1)
	v_cmpx_gt_i64_e64 s[4:5], v[0:1]
	s_cbranch_execz .LBB42_7
; %bb.1:
	s_bfe_u32 s2, ttmp6, 0x40010
	s_load_b64 s[20:21], s[0:1], 0x20
	s_and_b32 s8, ttmp7, 0xffff
	s_add_co_i32 s2, s2, 1
	s_bfe_u32 s9, ttmp6, 0x40004
	s_mul_i32 s2, s8, s2
	s_delay_alu instid0(SALU_CYCLE_1) | instskip(SKIP_2) | instid1(SALU_CYCLE_1)
	s_add_co_i32 s9, s9, s2
	s_cmp_eq_u32 s12, 0
	s_cselect_b32 s2, s8, s9
	v_cmp_le_i64_e64 s8, s[6:7], s[2:3]
	s_and_b32 vcc_lo, exec_lo, s8
	s_cbranch_vccnz .LBB42_7
; %bb.2:
	s_bfe_u32 s8, ttmp6, 0x40014
	s_lshr_b32 s13, ttmp7, 16
	s_add_co_i32 s8, s8, 1
	v_lshrrev_b64 v[0:1], 4, v[2:3]
	s_mul_i32 s14, s13, s8
	s_bfe_u32 s15, ttmp6, 0x40008
	s_mov_b32 s25, 0
	s_add_co_i32 s15, s15, s14
	s_cmp_eq_u32 s12, 0
	s_clause 0x1
	s_load_b128 s[8:11], s[0:1], 0x0
	s_load_b96 s[16:18], s[0:1], 0x28
	s_cselect_b32 s24, s13, s15
	v_lshlrev_b64_e32 v[4:5], 6, v[0:1]
	s_mul_u64 s[12:13], s[6:7], s[24:25]
	v_dual_mov_b32 v3, 0 :: v_dual_bitop2_b32 v2, 15, v2 bitop3:0x40
	s_add_nc_u64 s[12:13], s[12:13], s[2:3]
	s_add_nc_u64 s[22:23], s[0:1], 0x50
	s_mul_u64 s[12:13], s[4:5], s[12:13]
	s_delay_alu instid0(VALU_DEP_1)
	v_dual_mov_b32 v7, v3 :: v_dual_lshlrev_b32 v6, 1, v2
	v_lshl_add_u64 v[4:5], s[12:13], 1, v[4:5]
	s_load_b32 s26, s[22:23], 0x4
	s_clause 0x1
	s_load_b128 s[12:15], s[0:1], 0x38
	s_load_b64 s[28:29], s[0:1], 0x48
	s_mov_b32 s27, s25
	v_add_nc_u32_e32 v8, 12, v2
	v_add_nc_u64_e32 v[4:5], v[4:5], v[6:7]
	s_mul_u64 s[34:35], s[6:7], s[4:5]
	s_wait_xcnt 0x0
	s_mov_b32 s1, s25
	s_lshl_b64 s[34:35], s[34:35], 1
	s_wait_kmcnt 0x0
	s_mov_b32 s0, s16
	v_cmp_gt_i64_e64 s16, s[20:21], s[24:25]
	s_sub_co_i32 s33, 0, s18
	v_add_nc_u64_e32 v[4:5], s[10:11], v[4:5]
	s_mov_b64 s[10:11], s[24:25]
	s_delay_alu instid0(VALU_DEP_1)
	v_add_nc_u64_e32 v[4:5], 32, v[4:5]
	s_mul_u64 s[30:31], s[4:5], s[26:27]
	s_mov_b64 s[4:5], 0xffffffff
	s_lshl_b64 s[30:31], s[30:31], 1
	s_branch .LBB42_4
.LBB42_3:                               ;   in Loop: Header=BB42_4 Depth=1
	s_add_nc_u64 s[2:3], s[2:3], s[26:27]
	v_add_nc_u64_e32 v[4:5], s[30:31], v[4:5]
	v_cmp_ge_i64_e64 s18, s[2:3], s[6:7]
	s_and_b32 vcc_lo, exec_lo, s18
	s_cbranch_vccnz .LBB42_7
.LBB42_4:                               ; =>This Loop Header: Depth=1
                                        ;     Child Loop BB42_6 Depth 2
	s_and_not1_b32 vcc_lo, exec_lo, s16
	s_cbranch_vccnz .LBB42_3
; %bb.5:                                ;   in Loop: Header=BB42_4 Depth=1
	s_load_b32 s18, s[22:23], 0x8
	v_mov_b64_e32 v[6:7], v[4:5]
	s_mul_u64 s[36:37], s[2:3], s[12:13]
	s_mov_b32 s19, s25
	s_mul_u64 s[36:37], s[36:37], 22
	s_mov_b64 s[40:41], s[10:11]
	s_wait_kmcnt 0x0
	s_mul_u64 s[38:39], s[34:35], s[18:19]
.LBB42_6:                               ;   Parent Loop BB42_4 Depth=1
                                        ; =>  This Inner Loop Header: Depth=2
	s_and_b64 s[42:43], s[40:41], s[4:5]
	s_mov_b32 s45, s25
	s_mul_u64 s[42:43], s[0:1], s[42:43]
	s_delay_alu instid0(SALU_CYCLE_1) | instskip(NEXT) | instid1(SALU_CYCLE_1)
	s_add_co_i32 s24, s40, s43
	s_lshr_b32 s44, s24, s17
	s_delay_alu instid0(SALU_CYCLE_1)
	s_mul_i32 s24, s33, s44
	s_mul_u64 s[42:43], s[28:29], s[44:45]
	s_add_co_i32 s24, s40, s24
	s_mul_u64 s[42:43], s[42:43], 22
	s_mul_u64 s[44:45], s[14:15], s[24:25]
	s_add_nc_u64 s[42:43], s[8:9], s[42:43]
	s_mul_u64 s[44:45], s[44:45], 22
	s_add_nc_u64 s[40:41], s[40:41], s[18:19]
	s_add_nc_u64 s[42:43], s[42:43], s[44:45]
	v_cmp_ge_i64_e64 s24, s[40:41], s[20:21]
	s_add_nc_u64 s[42:43], s[42:43], s[36:37]
	s_delay_alu instid0(SALU_CYCLE_1) | instskip(SKIP_1) | instid1(VALU_DEP_1)
	v_mad_nc_u64_u32 v[10:11], v0, 22, s[42:43]
	s_and_b32 vcc_lo, exec_lo, s24
	v_mad_u32 v11, v1, 22, v11
	s_delay_alu instid0(VALU_DEP_1)
	v_add_nc_u64_e32 v[12:13], v[10:11], v[2:3]
	s_clause 0x2
	global_load_b32 v9, v[10:11], off
	global_load_u16 v14, v[10:11], off offset:4
	global_load_u8 v15, v[12:13], off offset:6
	s_wait_loadcnt 0x1
	s_wait_xcnt 0x1
	v_perm_b32 v10, v9, v14, 0x1000706
	s_wait_loadcnt 0x0
	s_wait_xcnt 0x0
	v_lshrrev_b16 v12, 4, v15
	s_delay_alu instid0(VALU_DEP_2) | instskip(NEXT) | instid1(VALU_DEP_1)
	v_dual_lshrrev_b32 v11, v2, v10 :: v_dual_lshrrev_b32 v10, v8, v10
	v_dual_lshlrev_b32 v11, 4, v11 :: v_dual_bitop2_b32 v12, -16, v12 bitop3:0x54
	s_delay_alu instid0(VALU_DEP_1) | instskip(NEXT) | instid1(VALU_DEP_2)
	v_bfe_i32 v12, v12, 0, 16
	v_and_b32_e32 v11, 16, v11
	s_delay_alu instid0(VALU_DEP_4) | instskip(NEXT) | instid1(VALU_DEP_1)
	v_and_b32_e32 v10, 16, v10
	v_dual_add_nc_u32 v10, v10, v12 :: v_dual_bitop2_b32 v13, -16, v15 bitop3:0x54
	s_delay_alu instid0(VALU_DEP_1) | instskip(NEXT) | instid1(VALU_DEP_2)
	v_add_nc_u32_e32 v11, v13, v11
	v_cvt_f32_i32_e32 v10, v10
	s_delay_alu instid0(VALU_DEP_2) | instskip(NEXT) | instid1(VALU_DEP_1)
	v_cvt_f32_i32_e32 v11, v11
	v_fma_mixlo_f16 v11, v9, v11, 0 op_sel_hi:[1,0,0]
	s_delay_alu instid0(VALU_DEP_3)
	v_fma_mixlo_f16 v9, v9, v10, 0 op_sel_hi:[1,0,0]
	s_clause 0x1
	global_store_b16 v[6:7], v11, off offset:-32
	global_store_b16 v[6:7], v9, off
	s_wait_xcnt 0x0
	v_add_nc_u64_e32 v[6:7], s[38:39], v[6:7]
	s_cbranch_vccz .LBB42_6
	s_branch .LBB42_3
.LBB42_7:
	s_endpgm
	.section	.rodata,"a",@progbits
	.p2align	6, 0x0
	.amdhsa_kernel _ZL16dequantize_blockILi32ELi2EXadL_ZL15dequantize_q5_0PKvliR15HIP_vector_typeIfLj2EEEE6__halfEvS1_PT2_lllS2_IjLj3EElll
		.amdhsa_group_segment_fixed_size 0
		.amdhsa_private_segment_fixed_size 0
		.amdhsa_kernarg_size 336
		.amdhsa_user_sgpr_count 2
		.amdhsa_user_sgpr_dispatch_ptr 0
		.amdhsa_user_sgpr_queue_ptr 0
		.amdhsa_user_sgpr_kernarg_segment_ptr 1
		.amdhsa_user_sgpr_dispatch_id 0
		.amdhsa_user_sgpr_kernarg_preload_length 0
		.amdhsa_user_sgpr_kernarg_preload_offset 0
		.amdhsa_user_sgpr_private_segment_size 0
		.amdhsa_wavefront_size32 1
		.amdhsa_uses_dynamic_stack 0
		.amdhsa_enable_private_segment 0
		.amdhsa_system_sgpr_workgroup_id_x 1
		.amdhsa_system_sgpr_workgroup_id_y 1
		.amdhsa_system_sgpr_workgroup_id_z 1
		.amdhsa_system_sgpr_workgroup_info 0
		.amdhsa_system_vgpr_workitem_id 0
		.amdhsa_next_free_vgpr 16
		.amdhsa_next_free_sgpr 46
		.amdhsa_named_barrier_count 0
		.amdhsa_reserve_vcc 1
		.amdhsa_float_round_mode_32 0
		.amdhsa_float_round_mode_16_64 0
		.amdhsa_float_denorm_mode_32 3
		.amdhsa_float_denorm_mode_16_64 3
		.amdhsa_fp16_overflow 0
		.amdhsa_memory_ordered 1
		.amdhsa_forward_progress 1
		.amdhsa_inst_pref_size 7
		.amdhsa_round_robin_scheduling 0
		.amdhsa_exception_fp_ieee_invalid_op 0
		.amdhsa_exception_fp_denorm_src 0
		.amdhsa_exception_fp_ieee_div_zero 0
		.amdhsa_exception_fp_ieee_overflow 0
		.amdhsa_exception_fp_ieee_underflow 0
		.amdhsa_exception_fp_ieee_inexact 0
		.amdhsa_exception_int_div_zero 0
	.end_amdhsa_kernel
	.section	.text._ZL16dequantize_blockILi32ELi2EXadL_ZL15dequantize_q5_0PKvliR15HIP_vector_typeIfLj2EEEE6__halfEvS1_PT2_lllS2_IjLj3EElll,"axG",@progbits,_ZL16dequantize_blockILi32ELi2EXadL_ZL15dequantize_q5_0PKvliR15HIP_vector_typeIfLj2EEEE6__halfEvS1_PT2_lllS2_IjLj3EElll,comdat
.Lfunc_end42:
	.size	_ZL16dequantize_blockILi32ELi2EXadL_ZL15dequantize_q5_0PKvliR15HIP_vector_typeIfLj2EEEE6__halfEvS1_PT2_lllS2_IjLj3EElll, .Lfunc_end42-_ZL16dequantize_blockILi32ELi2EXadL_ZL15dequantize_q5_0PKvliR15HIP_vector_typeIfLj2EEEE6__halfEvS1_PT2_lllS2_IjLj3EElll
                                        ; -- End function
	.set _ZL16dequantize_blockILi32ELi2EXadL_ZL15dequantize_q5_0PKvliR15HIP_vector_typeIfLj2EEEE6__halfEvS1_PT2_lllS2_IjLj3EElll.num_vgpr, 16
	.set _ZL16dequantize_blockILi32ELi2EXadL_ZL15dequantize_q5_0PKvliR15HIP_vector_typeIfLj2EEEE6__halfEvS1_PT2_lllS2_IjLj3EElll.num_agpr, 0
	.set _ZL16dequantize_blockILi32ELi2EXadL_ZL15dequantize_q5_0PKvliR15HIP_vector_typeIfLj2EEEE6__halfEvS1_PT2_lllS2_IjLj3EElll.numbered_sgpr, 46
	.set _ZL16dequantize_blockILi32ELi2EXadL_ZL15dequantize_q5_0PKvliR15HIP_vector_typeIfLj2EEEE6__halfEvS1_PT2_lllS2_IjLj3EElll.num_named_barrier, 0
	.set _ZL16dequantize_blockILi32ELi2EXadL_ZL15dequantize_q5_0PKvliR15HIP_vector_typeIfLj2EEEE6__halfEvS1_PT2_lllS2_IjLj3EElll.private_seg_size, 0
	.set _ZL16dequantize_blockILi32ELi2EXadL_ZL15dequantize_q5_0PKvliR15HIP_vector_typeIfLj2EEEE6__halfEvS1_PT2_lllS2_IjLj3EElll.uses_vcc, 1
	.set _ZL16dequantize_blockILi32ELi2EXadL_ZL15dequantize_q5_0PKvliR15HIP_vector_typeIfLj2EEEE6__halfEvS1_PT2_lllS2_IjLj3EElll.uses_flat_scratch, 0
	.set _ZL16dequantize_blockILi32ELi2EXadL_ZL15dequantize_q5_0PKvliR15HIP_vector_typeIfLj2EEEE6__halfEvS1_PT2_lllS2_IjLj3EElll.has_dyn_sized_stack, 0
	.set _ZL16dequantize_blockILi32ELi2EXadL_ZL15dequantize_q5_0PKvliR15HIP_vector_typeIfLj2EEEE6__halfEvS1_PT2_lllS2_IjLj3EElll.has_recursion, 0
	.set _ZL16dequantize_blockILi32ELi2EXadL_ZL15dequantize_q5_0PKvliR15HIP_vector_typeIfLj2EEEE6__halfEvS1_PT2_lllS2_IjLj3EElll.has_indirect_call, 0
	.section	.AMDGPU.csdata,"",@progbits
; Kernel info:
; codeLenInByte = 824
; TotalNumSgprs: 48
; NumVgprs: 16
; ScratchSize: 0
; MemoryBound: 0
; FloatMode: 240
; IeeeMode: 1
; LDSByteSize: 0 bytes/workgroup (compile time only)
; SGPRBlocks: 0
; VGPRBlocks: 0
; NumSGPRsForWavesPerEU: 48
; NumVGPRsForWavesPerEU: 16
; NamedBarCnt: 0
; Occupancy: 16
; WaveLimiterHint : 0
; COMPUTE_PGM_RSRC2:SCRATCH_EN: 0
; COMPUTE_PGM_RSRC2:USER_SGPR: 2
; COMPUTE_PGM_RSRC2:TRAP_HANDLER: 0
; COMPUTE_PGM_RSRC2:TGID_X_EN: 1
; COMPUTE_PGM_RSRC2:TGID_Y_EN: 1
; COMPUTE_PGM_RSRC2:TGID_Z_EN: 1
; COMPUTE_PGM_RSRC2:TIDIG_COMP_CNT: 0
	.section	.text._ZL16dequantize_blockILi32ELi2EXadL_ZL15dequantize_q5_1PKvliR15HIP_vector_typeIfLj2EEEE6__halfEvS1_PT2_lllS2_IjLj3EElll,"axG",@progbits,_ZL16dequantize_blockILi32ELi2EXadL_ZL15dequantize_q5_1PKvliR15HIP_vector_typeIfLj2EEEE6__halfEvS1_PT2_lllS2_IjLj3EElll,comdat
	.globl	_ZL16dequantize_blockILi32ELi2EXadL_ZL15dequantize_q5_1PKvliR15HIP_vector_typeIfLj2EEEE6__halfEvS1_PT2_lllS2_IjLj3EElll ; -- Begin function _ZL16dequantize_blockILi32ELi2EXadL_ZL15dequantize_q5_1PKvliR15HIP_vector_typeIfLj2EEEE6__halfEvS1_PT2_lllS2_IjLj3EElll
	.p2align	8
	.type	_ZL16dequantize_blockILi32ELi2EXadL_ZL15dequantize_q5_1PKvliR15HIP_vector_typeIfLj2EEEE6__halfEvS1_PT2_lllS2_IjLj3EElll,@function
_ZL16dequantize_blockILi32ELi2EXadL_ZL15dequantize_q5_1PKvliR15HIP_vector_typeIfLj2EEEE6__halfEvS1_PT2_lllS2_IjLj3EElll: ; @_ZL16dequantize_blockILi32ELi2EXadL_ZL15dequantize_q5_1PKvliR15HIP_vector_typeIfLj2EEEE6__halfEvS1_PT2_lllS2_IjLj3EElll
; %bb.0:
	s_load_b32 s2, s[0:1], 0x5c
	s_bfe_u32 s3, ttmp6, 0x4000c
	s_and_b32 s4, ttmp6, 15
	s_add_co_i32 s3, s3, 1
	s_getreg_b32 s12, hwreg(HW_REG_IB_STS2, 6, 4)
	s_mul_i32 s3, ttmp9, s3
	v_mov_b32_e32 v1, 0
	s_add_co_i32 s3, s4, s3
	s_load_b128 s[4:7], s[0:1], 0x10
	s_wait_kmcnt 0x0
	s_and_b32 s2, s2, 0xffff
	s_cmp_eq_u32 s12, 0
	s_cselect_b32 s3, ttmp9, s3
	s_delay_alu instid0(SALU_CYCLE_1) | instskip(SKIP_2) | instid1(VALU_DEP_1)
	v_mad_nc_u64_u32 v[2:3], s2, s3, v[0:1]
	s_mov_b32 s3, 0
	s_mov_b32 s2, exec_lo
	v_lshlrev_b64_e32 v[0:1], 1, v[2:3]
	s_delay_alu instid0(VALU_DEP_1)
	v_cmpx_gt_i64_e64 s[4:5], v[0:1]
	s_cbranch_execz .LBB43_7
; %bb.1:
	s_bfe_u32 s2, ttmp6, 0x40010
	s_load_b64 s[20:21], s[0:1], 0x20
	s_and_b32 s8, ttmp7, 0xffff
	s_add_co_i32 s2, s2, 1
	s_bfe_u32 s9, ttmp6, 0x40004
	s_mul_i32 s2, s8, s2
	s_delay_alu instid0(SALU_CYCLE_1) | instskip(SKIP_2) | instid1(SALU_CYCLE_1)
	s_add_co_i32 s9, s9, s2
	s_cmp_eq_u32 s12, 0
	s_cselect_b32 s2, s8, s9
	v_cmp_le_i64_e64 s8, s[6:7], s[2:3]
	s_and_b32 vcc_lo, exec_lo, s8
	s_cbranch_vccnz .LBB43_7
; %bb.2:
	s_bfe_u32 s8, ttmp6, 0x40014
	s_lshr_b32 s13, ttmp7, 16
	s_add_co_i32 s8, s8, 1
	v_lshrrev_b64 v[0:1], 4, v[2:3]
	s_mul_i32 s14, s13, s8
	s_bfe_u32 s15, ttmp6, 0x40008
	s_mov_b32 s25, 0
	s_add_co_i32 s15, s15, s14
	s_cmp_eq_u32 s12, 0
	s_clause 0x1
	s_load_b128 s[8:11], s[0:1], 0x0
	s_load_b96 s[16:18], s[0:1], 0x28
	s_cselect_b32 s24, s13, s15
	v_lshlrev_b64_e32 v[4:5], 6, v[0:1]
	s_mul_u64 s[12:13], s[6:7], s[24:25]
	v_dual_mov_b32 v3, 0 :: v_dual_bitop2_b32 v2, 15, v2 bitop3:0x40
	s_add_nc_u64 s[12:13], s[12:13], s[2:3]
	s_add_nc_u64 s[22:23], s[0:1], 0x50
	s_mul_u64 s[12:13], s[4:5], s[12:13]
	s_delay_alu instid0(VALU_DEP_1)
	v_dual_mov_b32 v7, v3 :: v_dual_lshlrev_b32 v6, 1, v2
	v_lshl_add_u64 v[4:5], s[12:13], 1, v[4:5]
	s_load_b32 s26, s[22:23], 0x4
	s_clause 0x1
	s_load_b128 s[12:15], s[0:1], 0x38
	s_load_b64 s[28:29], s[0:1], 0x48
	s_mov_b32 s27, s25
	v_add_nc_u32_e32 v8, 12, v2
	v_add_nc_u64_e32 v[4:5], v[4:5], v[6:7]
	s_mul_u64 s[34:35], s[6:7], s[4:5]
	s_wait_xcnt 0x0
	s_mov_b32 s1, s25
	s_lshl_b64 s[34:35], s[34:35], 1
	s_wait_kmcnt 0x0
	s_mov_b32 s0, s16
	v_cmp_gt_i64_e64 s16, s[20:21], s[24:25]
	s_sub_co_i32 s33, 0, s18
	v_add_nc_u64_e32 v[4:5], s[10:11], v[4:5]
	s_mov_b64 s[10:11], s[24:25]
	s_delay_alu instid0(VALU_DEP_1)
	v_add_nc_u64_e32 v[4:5], 32, v[4:5]
	s_mul_u64 s[30:31], s[4:5], s[26:27]
	s_mov_b64 s[4:5], 0xffffffff
	s_lshl_b64 s[30:31], s[30:31], 1
	s_branch .LBB43_4
.LBB43_3:                               ;   in Loop: Header=BB43_4 Depth=1
	s_add_nc_u64 s[2:3], s[2:3], s[26:27]
	v_add_nc_u64_e32 v[4:5], s[30:31], v[4:5]
	v_cmp_ge_i64_e64 s18, s[2:3], s[6:7]
	s_and_b32 vcc_lo, exec_lo, s18
	s_cbranch_vccnz .LBB43_7
.LBB43_4:                               ; =>This Loop Header: Depth=1
                                        ;     Child Loop BB43_6 Depth 2
	s_and_not1_b32 vcc_lo, exec_lo, s16
	s_cbranch_vccnz .LBB43_3
; %bb.5:                                ;   in Loop: Header=BB43_4 Depth=1
	s_load_b32 s18, s[22:23], 0x8
	v_mov_b64_e32 v[6:7], v[4:5]
	s_mul_u64 s[36:37], s[2:3], s[12:13]
	s_mov_b32 s19, s25
	s_mul_u64 s[36:37], s[36:37], 24
	s_mov_b64 s[40:41], s[10:11]
	s_wait_kmcnt 0x0
	s_mul_u64 s[38:39], s[34:35], s[18:19]
.LBB43_6:                               ;   Parent Loop BB43_4 Depth=1
                                        ; =>  This Inner Loop Header: Depth=2
	s_and_b64 s[42:43], s[40:41], s[4:5]
	s_mov_b32 s45, s25
	s_mul_u64 s[42:43], s[0:1], s[42:43]
	s_delay_alu instid0(SALU_CYCLE_1) | instskip(NEXT) | instid1(SALU_CYCLE_1)
	s_add_co_i32 s24, s40, s43
	s_lshr_b32 s44, s24, s17
	s_delay_alu instid0(SALU_CYCLE_1)
	s_mul_i32 s24, s33, s44
	s_mul_u64 s[42:43], s[28:29], s[44:45]
	s_add_co_i32 s24, s40, s24
	s_mul_u64 s[42:43], s[42:43], 24
	s_mul_u64 s[44:45], s[14:15], s[24:25]
	s_add_nc_u64 s[42:43], s[8:9], s[42:43]
	s_mul_u64 s[44:45], s[44:45], 24
	s_add_nc_u64 s[40:41], s[40:41], s[18:19]
	s_add_nc_u64 s[42:43], s[42:43], s[44:45]
	v_cmp_ge_i64_e64 s24, s[40:41], s[20:21]
	s_add_nc_u64 s[42:43], s[42:43], s[36:37]
	s_delay_alu instid0(SALU_CYCLE_1) | instskip(SKIP_1) | instid1(VALU_DEP_1)
	v_mad_nc_u64_u32 v[10:11], v0, 24, s[42:43]
	s_and_b32 vcc_lo, exec_lo, s24
	v_mad_u32 v11, v1, 24, v11
	s_delay_alu instid0(VALU_DEP_1)
	v_add_nc_u64_e32 v[12:13], v[10:11], v[2:3]
	s_clause 0x1
	global_load_b64 v[14:15], v[10:11], off
	global_load_u8 v9, v[12:13], off offset:8
	s_wait_loadcnt 0x1
	s_wait_xcnt 0x1
	v_dual_lshrrev_b32 v10, v2, v15 :: v_dual_lshrrev_b32 v11, v8, v15
	s_wait_loadcnt 0x0
	s_wait_xcnt 0x0
	v_and_b32_e32 v12, 15, v9
	v_lshrrev_b16 v9, 4, v9
	v_lshlrev_b32_e32 v10, 4, v10
	s_delay_alu instid0(VALU_DEP_2) | instskip(NEXT) | instid1(VALU_DEP_2)
	v_and_or_b32 v9, v11, 16, v9
	v_and_or_b32 v10, v10, 16, v12
	s_delay_alu instid0(VALU_DEP_2) | instskip(NEXT) | instid1(VALU_DEP_2)
	v_cvt_f32_ubyte0_e32 v9, v9
	v_cvt_f32_ubyte0_e32 v10, v10
	s_delay_alu instid0(VALU_DEP_2) | instskip(NEXT) | instid1(VALU_DEP_2)
	v_fma_mixlo_f16 v9, v14, v9, v14 op_sel:[0,0,1] op_sel_hi:[1,0,1]
	v_fma_mixlo_f16 v10, v14, v10, v14 op_sel:[0,0,1] op_sel_hi:[1,0,1]
	s_clause 0x1
	global_store_b16 v[6:7], v10, off offset:-32
	global_store_b16 v[6:7], v9, off
	s_wait_xcnt 0x0
	v_add_nc_u64_e32 v[6:7], s[38:39], v[6:7]
	s_cbranch_vccz .LBB43_6
	s_branch .LBB43_3
.LBB43_7:
	s_endpgm
	.section	.rodata,"a",@progbits
	.p2align	6, 0x0
	.amdhsa_kernel _ZL16dequantize_blockILi32ELi2EXadL_ZL15dequantize_q5_1PKvliR15HIP_vector_typeIfLj2EEEE6__halfEvS1_PT2_lllS2_IjLj3EElll
		.amdhsa_group_segment_fixed_size 0
		.amdhsa_private_segment_fixed_size 0
		.amdhsa_kernarg_size 336
		.amdhsa_user_sgpr_count 2
		.amdhsa_user_sgpr_dispatch_ptr 0
		.amdhsa_user_sgpr_queue_ptr 0
		.amdhsa_user_sgpr_kernarg_segment_ptr 1
		.amdhsa_user_sgpr_dispatch_id 0
		.amdhsa_user_sgpr_kernarg_preload_length 0
		.amdhsa_user_sgpr_kernarg_preload_offset 0
		.amdhsa_user_sgpr_private_segment_size 0
		.amdhsa_wavefront_size32 1
		.amdhsa_uses_dynamic_stack 0
		.amdhsa_enable_private_segment 0
		.amdhsa_system_sgpr_workgroup_id_x 1
		.amdhsa_system_sgpr_workgroup_id_y 1
		.amdhsa_system_sgpr_workgroup_id_z 1
		.amdhsa_system_sgpr_workgroup_info 0
		.amdhsa_system_vgpr_workitem_id 0
		.amdhsa_next_free_vgpr 16
		.amdhsa_next_free_sgpr 46
		.amdhsa_named_barrier_count 0
		.amdhsa_reserve_vcc 1
		.amdhsa_float_round_mode_32 0
		.amdhsa_float_round_mode_16_64 0
		.amdhsa_float_denorm_mode_32 3
		.amdhsa_float_denorm_mode_16_64 3
		.amdhsa_fp16_overflow 0
		.amdhsa_memory_ordered 1
		.amdhsa_forward_progress 1
		.amdhsa_inst_pref_size 6
		.amdhsa_round_robin_scheduling 0
		.amdhsa_exception_fp_ieee_invalid_op 0
		.amdhsa_exception_fp_denorm_src 0
		.amdhsa_exception_fp_ieee_div_zero 0
		.amdhsa_exception_fp_ieee_overflow 0
		.amdhsa_exception_fp_ieee_underflow 0
		.amdhsa_exception_fp_ieee_inexact 0
		.amdhsa_exception_int_div_zero 0
	.end_amdhsa_kernel
	.section	.text._ZL16dequantize_blockILi32ELi2EXadL_ZL15dequantize_q5_1PKvliR15HIP_vector_typeIfLj2EEEE6__halfEvS1_PT2_lllS2_IjLj3EElll,"axG",@progbits,_ZL16dequantize_blockILi32ELi2EXadL_ZL15dequantize_q5_1PKvliR15HIP_vector_typeIfLj2EEEE6__halfEvS1_PT2_lllS2_IjLj3EElll,comdat
.Lfunc_end43:
	.size	_ZL16dequantize_blockILi32ELi2EXadL_ZL15dequantize_q5_1PKvliR15HIP_vector_typeIfLj2EEEE6__halfEvS1_PT2_lllS2_IjLj3EElll, .Lfunc_end43-_ZL16dequantize_blockILi32ELi2EXadL_ZL15dequantize_q5_1PKvliR15HIP_vector_typeIfLj2EEEE6__halfEvS1_PT2_lllS2_IjLj3EElll
                                        ; -- End function
	.set _ZL16dequantize_blockILi32ELi2EXadL_ZL15dequantize_q5_1PKvliR15HIP_vector_typeIfLj2EEEE6__halfEvS1_PT2_lllS2_IjLj3EElll.num_vgpr, 16
	.set _ZL16dequantize_blockILi32ELi2EXadL_ZL15dequantize_q5_1PKvliR15HIP_vector_typeIfLj2EEEE6__halfEvS1_PT2_lllS2_IjLj3EElll.num_agpr, 0
	.set _ZL16dequantize_blockILi32ELi2EXadL_ZL15dequantize_q5_1PKvliR15HIP_vector_typeIfLj2EEEE6__halfEvS1_PT2_lllS2_IjLj3EElll.numbered_sgpr, 46
	.set _ZL16dequantize_blockILi32ELi2EXadL_ZL15dequantize_q5_1PKvliR15HIP_vector_typeIfLj2EEEE6__halfEvS1_PT2_lllS2_IjLj3EElll.num_named_barrier, 0
	.set _ZL16dequantize_blockILi32ELi2EXadL_ZL15dequantize_q5_1PKvliR15HIP_vector_typeIfLj2EEEE6__halfEvS1_PT2_lllS2_IjLj3EElll.private_seg_size, 0
	.set _ZL16dequantize_blockILi32ELi2EXadL_ZL15dequantize_q5_1PKvliR15HIP_vector_typeIfLj2EEEE6__halfEvS1_PT2_lllS2_IjLj3EElll.uses_vcc, 1
	.set _ZL16dequantize_blockILi32ELi2EXadL_ZL15dequantize_q5_1PKvliR15HIP_vector_typeIfLj2EEEE6__halfEvS1_PT2_lllS2_IjLj3EElll.uses_flat_scratch, 0
	.set _ZL16dequantize_blockILi32ELi2EXadL_ZL15dequantize_q5_1PKvliR15HIP_vector_typeIfLj2EEEE6__halfEvS1_PT2_lllS2_IjLj3EElll.has_dyn_sized_stack, 0
	.set _ZL16dequantize_blockILi32ELi2EXadL_ZL15dequantize_q5_1PKvliR15HIP_vector_typeIfLj2EEEE6__halfEvS1_PT2_lllS2_IjLj3EElll.has_recursion, 0
	.set _ZL16dequantize_blockILi32ELi2EXadL_ZL15dequantize_q5_1PKvliR15HIP_vector_typeIfLj2EEEE6__halfEvS1_PT2_lllS2_IjLj3EElll.has_indirect_call, 0
	.section	.AMDGPU.csdata,"",@progbits
; Kernel info:
; codeLenInByte = 768
; TotalNumSgprs: 48
; NumVgprs: 16
; ScratchSize: 0
; MemoryBound: 0
; FloatMode: 240
; IeeeMode: 1
; LDSByteSize: 0 bytes/workgroup (compile time only)
; SGPRBlocks: 0
; VGPRBlocks: 0
; NumSGPRsForWavesPerEU: 48
; NumVGPRsForWavesPerEU: 16
; NamedBarCnt: 0
; Occupancy: 16
; WaveLimiterHint : 0
; COMPUTE_PGM_RSRC2:SCRATCH_EN: 0
; COMPUTE_PGM_RSRC2:USER_SGPR: 2
; COMPUTE_PGM_RSRC2:TRAP_HANDLER: 0
; COMPUTE_PGM_RSRC2:TGID_X_EN: 1
; COMPUTE_PGM_RSRC2:TGID_Y_EN: 1
; COMPUTE_PGM_RSRC2:TGID_Z_EN: 1
; COMPUTE_PGM_RSRC2:TIDIG_COMP_CNT: 0
	.section	.text._ZL16dequantize_blockILi32ELi1EXadL_ZL15dequantize_q8_0PKvliR15HIP_vector_typeIfLj2EEEE6__halfEvS1_PT2_lllS2_IjLj3EElll,"axG",@progbits,_ZL16dequantize_blockILi32ELi1EXadL_ZL15dequantize_q8_0PKvliR15HIP_vector_typeIfLj2EEEE6__halfEvS1_PT2_lllS2_IjLj3EElll,comdat
	.globl	_ZL16dequantize_blockILi32ELi1EXadL_ZL15dequantize_q8_0PKvliR15HIP_vector_typeIfLj2EEEE6__halfEvS1_PT2_lllS2_IjLj3EElll ; -- Begin function _ZL16dequantize_blockILi32ELi1EXadL_ZL15dequantize_q8_0PKvliR15HIP_vector_typeIfLj2EEEE6__halfEvS1_PT2_lllS2_IjLj3EElll
	.p2align	8
	.type	_ZL16dequantize_blockILi32ELi1EXadL_ZL15dequantize_q8_0PKvliR15HIP_vector_typeIfLj2EEEE6__halfEvS1_PT2_lllS2_IjLj3EElll,@function
_ZL16dequantize_blockILi32ELi1EXadL_ZL15dequantize_q8_0PKvliR15HIP_vector_typeIfLj2EEEE6__halfEvS1_PT2_lllS2_IjLj3EElll: ; @_ZL16dequantize_blockILi32ELi1EXadL_ZL15dequantize_q8_0PKvliR15HIP_vector_typeIfLj2EEEE6__halfEvS1_PT2_lllS2_IjLj3EElll
; %bb.0:
	s_clause 0x1
	s_load_b32 s12, s[0:1], 0x5c
	s_load_b128 s[4:7], s[0:1], 0x10
	s_bfe_u32 s2, ttmp6, 0x4000c
	s_and_b32 s3, ttmp6, 15
	s_add_co_i32 s2, s2, 1
	s_getreg_b32 s14, hwreg(HW_REG_IB_STS2, 6, 4)
	s_mul_i32 s2, ttmp9, s2
	v_mov_b32_e32 v1, 0
	s_add_co_i32 s3, s3, s2
	s_cmp_eq_u32 s14, 0
	s_cselect_b32 s13, ttmp9, s3
	s_mov_b32 s3, 0
	s_wait_kmcnt 0x0
	s_and_b32 s2, s12, 0xffff
	s_delay_alu instid0(SALU_CYCLE_1) | instskip(SKIP_1) | instid1(VALU_DEP_1)
	v_mad_nc_u64_u32 v[2:3], s2, s13, v[0:1]
	s_mov_b32 s2, exec_lo
	v_lshlrev_b64_e32 v[4:5], 1, v[2:3]
	s_delay_alu instid0(VALU_DEP_1)
	v_cmpx_gt_i64_e64 s[4:5], v[4:5]
	s_cbranch_execz .LBB44_7
; %bb.1:
	s_bfe_u32 s2, ttmp6, 0x40010
	s_load_b64 s[20:21], s[0:1], 0x20
	s_and_b32 s8, ttmp7, 0xffff
	s_add_co_i32 s2, s2, 1
	s_bfe_u32 s9, ttmp6, 0x40004
	s_mul_i32 s2, s8, s2
	s_delay_alu instid0(SALU_CYCLE_1) | instskip(SKIP_2) | instid1(SALU_CYCLE_1)
	s_add_co_i32 s9, s9, s2
	s_cmp_eq_u32 s14, 0
	s_cselect_b32 s2, s8, s9
	v_cmp_le_i64_e64 s8, s[6:7], s[2:3]
	s_and_b32 vcc_lo, exec_lo, s8
	s_cbranch_vccnz .LBB44_7
; %bb.2:
	s_bfe_u32 s15, ttmp6, 0x40014
	s_lshr_b32 s19, ttmp7, 16
	s_add_co_i32 s15, s15, 1
	v_lshrrev_b64 v[2:3], 4, v[2:3]
	s_mul_i32 s15, s19, s15
	s_bfe_u32 s24, ttmp6, 0x40008
	s_mul_i32 s13, s13, s12
	s_add_co_i32 s24, s24, s15
	s_cmp_eq_u32 s14, 0
	v_add_nc_u16 v0, s13, v0
	s_mov_b32 s25, 0
	s_cselect_b32 s24, s19, s24
	s_clause 0x1
	s_load_b128 s[8:11], s[0:1], 0x0
	s_load_b96 s[16:18], s[0:1], 0x28
	v_lshlrev_b64_e32 v[6:7], 6, v[2:3]
	s_add_nc_u64 s[22:23], s[0:1], 0x50
	s_mul_u64 s[12:13], s[6:7], s[24:25]
	s_load_b32 s26, s[22:23], 0x4
	s_add_nc_u64 s[12:13], s[12:13], s[2:3]
	v_dual_mov_b32 v1, 0 :: v_dual_bitop2_b32 v0, 15, v0 bitop3:0x40
	s_mul_u64 s[12:13], s[4:5], s[12:13]
	s_mov_b32 s27, s25
	v_lshl_add_u64 v[6:7], s[12:13], 1, v[6:7]
	s_clause 0x1
	s_load_b128 s[12:15], s[0:1], 0x38
	s_load_b64 s[28:29], s[0:1], 0x48
	v_dual_mov_b32 v9, v1 :: v_dual_lshlrev_b32 v8, 2, v0
	v_and_b32_e32 v0, 30, v4
	s_mul_u64 s[34:35], s[6:7], s[4:5]
	s_wait_xcnt 0x0
	s_mov_b64 s[0:1], s[24:25]
	s_mov_b32 s31, s25
	v_add_nc_u64_e32 v[6:7], v[6:7], v[8:9]
	s_lshl_b64 s[34:35], s[34:35], 1
	s_wait_kmcnt 0x0
	s_mov_b32 s30, s16
	v_cmp_gt_i64_e64 s16, s[20:21], s[24:25]
	s_sub_co_i32 s33, 0, s18
	v_add_nc_u64_e32 v[4:5], s[10:11], v[6:7]
	s_mul_u64 s[10:11], s[4:5], s[26:27]
	s_mov_b64 s[4:5], 0xffffffff
	s_lshl_b64 s[10:11], s[10:11], 1
	s_branch .LBB44_4
.LBB44_3:                               ;   in Loop: Header=BB44_4 Depth=1
	s_add_nc_u64 s[2:3], s[2:3], s[26:27]
	v_add_nc_u64_e32 v[4:5], s[10:11], v[4:5]
	v_cmp_ge_i64_e64 s18, s[2:3], s[6:7]
	s_and_b32 vcc_lo, exec_lo, s18
	s_cbranch_vccnz .LBB44_7
.LBB44_4:                               ; =>This Loop Header: Depth=1
                                        ;     Child Loop BB44_6 Depth 2
	s_and_not1_b32 vcc_lo, exec_lo, s16
	s_cbranch_vccnz .LBB44_3
; %bb.5:                                ;   in Loop: Header=BB44_4 Depth=1
	s_load_b32 s18, s[22:23], 0x8
	v_mov_b64_e32 v[6:7], v[4:5]
	s_mul_u64 s[36:37], s[2:3], s[12:13]
	s_mov_b32 s19, s25
	s_mul_u64 s[36:37], s[36:37], 34
	s_mov_b64 s[40:41], s[0:1]
	s_wait_kmcnt 0x0
	s_mul_u64 s[38:39], s[34:35], s[18:19]
.LBB44_6:                               ;   Parent Loop BB44_4 Depth=1
                                        ; =>  This Inner Loop Header: Depth=2
	s_and_b64 s[42:43], s[40:41], s[4:5]
	s_mov_b32 s45, s25
	s_mul_u64 s[42:43], s[30:31], s[42:43]
	s_delay_alu instid0(SALU_CYCLE_1) | instskip(NEXT) | instid1(SALU_CYCLE_1)
	s_add_co_i32 s24, s40, s43
	s_lshr_b32 s44, s24, s17
	s_delay_alu instid0(SALU_CYCLE_1)
	s_mul_i32 s24, s33, s44
	s_mul_u64 s[42:43], s[28:29], s[44:45]
	s_add_co_i32 s24, s40, s24
	s_mul_u64 s[42:43], s[42:43], 34
	s_mul_u64 s[44:45], s[14:15], s[24:25]
	s_add_nc_u64 s[42:43], s[8:9], s[42:43]
	s_mul_u64 s[44:45], s[44:45], 34
	s_add_nc_u64 s[40:41], s[40:41], s[18:19]
	s_add_nc_u64 s[42:43], s[42:43], s[44:45]
	v_cmp_ge_i64_e64 s24, s[40:41], s[20:21]
	s_add_nc_u64 s[42:43], s[42:43], s[36:37]
	s_delay_alu instid0(SALU_CYCLE_1) | instskip(SKIP_1) | instid1(VALU_DEP_1)
	v_mad_nc_u64_u32 v[8:9], v2, 34, s[42:43]
	s_and_b32 vcc_lo, exec_lo, s24
	v_mad_u32 v9, v3, 34, v9
	s_delay_alu instid0(VALU_DEP_1)
	v_add_nc_u64_e32 v[10:11], v[8:9], v[0:1]
	s_clause 0x1
	global_load_u16 v12, v[8:9], off
	global_load_u16 v13, v[10:11], off offset:2
	s_wait_loadcnt 0x0
	s_wait_xcnt 0x1
	v_ashrrev_i16 v8, 8, v13
	v_bfe_i32 v9, v13, 0, 8
	s_wait_xcnt 0x0
	s_delay_alu instid0(VALU_DEP_2) | instskip(NEXT) | instid1(VALU_DEP_2)
	v_bfe_i32 v10, v8, 0, 16
	v_bfe_i32 v9, v9, 0, 16
	v_cvt_f32_f16_e32 v8, v12
	s_delay_alu instid0(VALU_DEP_3) | instskip(NEXT) | instid1(VALU_DEP_3)
	v_cvt_f32_i32_e32 v11, v10
	v_cvt_f32_i32_e32 v10, v9
	s_delay_alu instid0(VALU_DEP_1) | instskip(NEXT) | instid1(VALU_DEP_1)
	v_pk_mul_f32 v[8:9], v[8:9], v[10:11] op_sel_hi:[0,1]
	v_cvt_pk_f16_f32 v8, v8, v9
	global_store_b32 v[6:7], v8, off
	s_wait_xcnt 0x0
	v_add_nc_u64_e32 v[6:7], s[38:39], v[6:7]
	s_cbranch_vccz .LBB44_6
	s_branch .LBB44_3
.LBB44_7:
	s_endpgm
	.section	.rodata,"a",@progbits
	.p2align	6, 0x0
	.amdhsa_kernel _ZL16dequantize_blockILi32ELi1EXadL_ZL15dequantize_q8_0PKvliR15HIP_vector_typeIfLj2EEEE6__halfEvS1_PT2_lllS2_IjLj3EElll
		.amdhsa_group_segment_fixed_size 0
		.amdhsa_private_segment_fixed_size 0
		.amdhsa_kernarg_size 336
		.amdhsa_user_sgpr_count 2
		.amdhsa_user_sgpr_dispatch_ptr 0
		.amdhsa_user_sgpr_queue_ptr 0
		.amdhsa_user_sgpr_kernarg_segment_ptr 1
		.amdhsa_user_sgpr_dispatch_id 0
		.amdhsa_user_sgpr_kernarg_preload_length 0
		.amdhsa_user_sgpr_kernarg_preload_offset 0
		.amdhsa_user_sgpr_private_segment_size 0
		.amdhsa_wavefront_size32 1
		.amdhsa_uses_dynamic_stack 0
		.amdhsa_enable_private_segment 0
		.amdhsa_system_sgpr_workgroup_id_x 1
		.amdhsa_system_sgpr_workgroup_id_y 1
		.amdhsa_system_sgpr_workgroup_id_z 1
		.amdhsa_system_sgpr_workgroup_info 0
		.amdhsa_system_vgpr_workitem_id 0
		.amdhsa_next_free_vgpr 14
		.amdhsa_next_free_sgpr 46
		.amdhsa_named_barrier_count 0
		.amdhsa_reserve_vcc 1
		.amdhsa_float_round_mode_32 0
		.amdhsa_float_round_mode_16_64 0
		.amdhsa_float_denorm_mode_32 3
		.amdhsa_float_denorm_mode_16_64 3
		.amdhsa_fp16_overflow 0
		.amdhsa_memory_ordered 1
		.amdhsa_forward_progress 1
		.amdhsa_inst_pref_size 6
		.amdhsa_round_robin_scheduling 0
		.amdhsa_exception_fp_ieee_invalid_op 0
		.amdhsa_exception_fp_denorm_src 0
		.amdhsa_exception_fp_ieee_div_zero 0
		.amdhsa_exception_fp_ieee_overflow 0
		.amdhsa_exception_fp_ieee_underflow 0
		.amdhsa_exception_fp_ieee_inexact 0
		.amdhsa_exception_int_div_zero 0
	.end_amdhsa_kernel
	.section	.text._ZL16dequantize_blockILi32ELi1EXadL_ZL15dequantize_q8_0PKvliR15HIP_vector_typeIfLj2EEEE6__halfEvS1_PT2_lllS2_IjLj3EElll,"axG",@progbits,_ZL16dequantize_blockILi32ELi1EXadL_ZL15dequantize_q8_0PKvliR15HIP_vector_typeIfLj2EEEE6__halfEvS1_PT2_lllS2_IjLj3EElll,comdat
.Lfunc_end44:
	.size	_ZL16dequantize_blockILi32ELi1EXadL_ZL15dequantize_q8_0PKvliR15HIP_vector_typeIfLj2EEEE6__halfEvS1_PT2_lllS2_IjLj3EElll, .Lfunc_end44-_ZL16dequantize_blockILi32ELi1EXadL_ZL15dequantize_q8_0PKvliR15HIP_vector_typeIfLj2EEEE6__halfEvS1_PT2_lllS2_IjLj3EElll
                                        ; -- End function
	.set _ZL16dequantize_blockILi32ELi1EXadL_ZL15dequantize_q8_0PKvliR15HIP_vector_typeIfLj2EEEE6__halfEvS1_PT2_lllS2_IjLj3EElll.num_vgpr, 14
	.set _ZL16dequantize_blockILi32ELi1EXadL_ZL15dequantize_q8_0PKvliR15HIP_vector_typeIfLj2EEEE6__halfEvS1_PT2_lllS2_IjLj3EElll.num_agpr, 0
	.set _ZL16dequantize_blockILi32ELi1EXadL_ZL15dequantize_q8_0PKvliR15HIP_vector_typeIfLj2EEEE6__halfEvS1_PT2_lllS2_IjLj3EElll.numbered_sgpr, 46
	.set _ZL16dequantize_blockILi32ELi1EXadL_ZL15dequantize_q8_0PKvliR15HIP_vector_typeIfLj2EEEE6__halfEvS1_PT2_lllS2_IjLj3EElll.num_named_barrier, 0
	.set _ZL16dequantize_blockILi32ELi1EXadL_ZL15dequantize_q8_0PKvliR15HIP_vector_typeIfLj2EEEE6__halfEvS1_PT2_lllS2_IjLj3EElll.private_seg_size, 0
	.set _ZL16dequantize_blockILi32ELi1EXadL_ZL15dequantize_q8_0PKvliR15HIP_vector_typeIfLj2EEEE6__halfEvS1_PT2_lllS2_IjLj3EElll.uses_vcc, 1
	.set _ZL16dequantize_blockILi32ELi1EXadL_ZL15dequantize_q8_0PKvliR15HIP_vector_typeIfLj2EEEE6__halfEvS1_PT2_lllS2_IjLj3EElll.uses_flat_scratch, 0
	.set _ZL16dequantize_blockILi32ELi1EXadL_ZL15dequantize_q8_0PKvliR15HIP_vector_typeIfLj2EEEE6__halfEvS1_PT2_lllS2_IjLj3EElll.has_dyn_sized_stack, 0
	.set _ZL16dequantize_blockILi32ELi1EXadL_ZL15dequantize_q8_0PKvliR15HIP_vector_typeIfLj2EEEE6__halfEvS1_PT2_lllS2_IjLj3EElll.has_recursion, 0
	.set _ZL16dequantize_blockILi32ELi1EXadL_ZL15dequantize_q8_0PKvliR15HIP_vector_typeIfLj2EEEE6__halfEvS1_PT2_lllS2_IjLj3EElll.has_indirect_call, 0
	.section	.AMDGPU.csdata,"",@progbits
; Kernel info:
; codeLenInByte = 744
; TotalNumSgprs: 48
; NumVgprs: 14
; ScratchSize: 0
; MemoryBound: 0
; FloatMode: 240
; IeeeMode: 1
; LDSByteSize: 0 bytes/workgroup (compile time only)
; SGPRBlocks: 0
; VGPRBlocks: 0
; NumSGPRsForWavesPerEU: 48
; NumVGPRsForWavesPerEU: 14
; NamedBarCnt: 0
; Occupancy: 16
; WaveLimiterHint : 0
; COMPUTE_PGM_RSRC2:SCRATCH_EN: 0
; COMPUTE_PGM_RSRC2:USER_SGPR: 2
; COMPUTE_PGM_RSRC2:TRAP_HANDLER: 0
; COMPUTE_PGM_RSRC2:TGID_X_EN: 1
; COMPUTE_PGM_RSRC2:TGID_Y_EN: 1
; COMPUTE_PGM_RSRC2:TGID_Z_EN: 1
; COMPUTE_PGM_RSRC2:TIDIG_COMP_CNT: 0
	.section	.text._ZL13convert_unaryI14__hip_bfloat166__halfEvPKvPT0_lll15HIP_vector_typeIjLj3EElll,"axG",@progbits,_ZL13convert_unaryI14__hip_bfloat166__halfEvPKvPT0_lll15HIP_vector_typeIjLj3EElll,comdat
	.globl	_ZL13convert_unaryI14__hip_bfloat166__halfEvPKvPT0_lll15HIP_vector_typeIjLj3EElll ; -- Begin function _ZL13convert_unaryI14__hip_bfloat166__halfEvPKvPT0_lll15HIP_vector_typeIjLj3EElll
	.p2align	8
	.type	_ZL13convert_unaryI14__hip_bfloat166__halfEvPKvPT0_lll15HIP_vector_typeIjLj3EElll,@function
_ZL13convert_unaryI14__hip_bfloat166__halfEvPKvPT0_lll15HIP_vector_typeIjLj3EElll: ; @_ZL13convert_unaryI14__hip_bfloat166__halfEvPKvPT0_lll15HIP_vector_typeIjLj3EElll
; %bb.0:
	s_clause 0x1
	s_load_b32 s2, s[0:1], 0x5c
	s_load_b128 s[88:91], s[0:1], 0x10
	s_bfe_u32 s3, ttmp6, 0x4000c
	s_and_b32 s5, ttmp6, 15
	s_add_co_i32 s3, s3, 1
	s_getreg_b32 s4, hwreg(HW_REG_IB_STS2, 6, 4)
	s_mul_i32 s3, ttmp9, s3
	v_mov_b32_e32 v1, 0
	s_add_co_i32 s5, s5, s3
	s_wait_kmcnt 0x0
	s_and_b32 s2, s2, 0xffff
	s_cmp_eq_u32 s4, 0
	s_cselect_b32 s3, ttmp9, s5
	s_delay_alu instid0(SALU_CYCLE_1) | instskip(SKIP_2) | instid1(VALU_DEP_1)
	v_mad_nc_u64_u32 v[0:1], s2, s3, v[0:1]
	s_mov_b32 s3, 0
	s_mov_b32 s2, exec_lo
	v_cmpx_gt_i64_e64 s[88:89], v[0:1]
	s_cbranch_execz .LBB45_17
; %bb.1:
	s_bfe_u32 s2, ttmp6, 0x40010
	s_load_b64 s[20:21], s[0:1], 0x20
	s_and_b32 s5, ttmp7, 0xffff
	s_add_co_i32 s2, s2, 1
	s_bfe_u32 s6, ttmp6, 0x40004
	s_mul_i32 s2, s5, s2
	s_delay_alu instid0(SALU_CYCLE_1) | instskip(SKIP_2) | instid1(SALU_CYCLE_1)
	s_add_co_i32 s6, s6, s2
	s_cmp_eq_u32 s4, 0
	s_cselect_b32 s2, s5, s6
	v_cmp_le_i64_e64 s5, s[90:91], s[2:3]
	s_and_b32 vcc_lo, exec_lo, s5
	s_cbranch_vccnz .LBB45_17
; %bb.2:
	s_clause 0x3
	s_load_b128 s[8:11], s[0:1], 0x0
	s_load_b96 s[92:94], s[0:1], 0x28
	s_load_b128 s[16:19], s[0:1], 0x38
	s_load_b64 s[24:25], s[0:1], 0x48
                                        ; implicit-def: $vgpr19 : SGPR spill to VGPR lane
	s_add_nc_u64 s[78:79], s[0:1], 0x50
	s_wait_xcnt 0x0
	s_bfe_u32 s1, ttmp6, 0x40014
	s_lshr_b32 s0, ttmp7, 16
	s_add_co_i32 s1, s1, 1
	s_bfe_u32 s5, ttmp6, 0x40008
	s_mul_i32 s1, s0, s1
	s_mov_b32 s83, 0
	s_add_co_i32 s5, s5, s1
	s_cmp_eq_u32 s4, 0
	s_mov_b32 s1, s83
	s_cselect_b32 s86, s0, s5
	s_mov_b32 s0, s83
	s_mul_u64 s[4:5], s[90:91], s[88:89]
	s_mov_b32 s54, s90
	s_mov_b32 s55, s91
	;; [unrolled: 1-line block ×5, first 2 shown]
	s_wait_kmcnt 0x0
	s_mov_b32 s12, s18
	s_mov_b32 s13, s19
	;; [unrolled: 1-line block ×7, first 2 shown]
	v_writelane_b32 v19, s16, 0
	s_mov_b32 s59, s91
	s_mov_b32 s60, s90
	s_mov_b32 s61, s91
	s_mov_b32 s62, s88
	v_writelane_b32 v19, s17, 1
	s_mov_b32 s63, s89
	s_mov_b32 s64, s88
	s_mov_b32 s65, s89
	s_mov_b32 s66, s88
	;; [unrolled: 5-line block ×3, first 2 shown]
	v_writelane_b32 v19, s19, 3
                                        ; implicit-def: $vgpr18 : SGPR spill to VGPR lane
	v_lshl_add_u64 v[2:3], v[0:1], 1, s[10:11]
	s_mov_b32 s96, s92
	s_mov_b32 s34, s92
	s_mov_b32 s36, s92
	v_writelane_b32 v19, s0, 4
	s_mov_b32 s0, s86
	s_mov_b32 s38, s92
	s_mov_b32 s46, s92
	s_mov_b32 s33, s93
	v_writelane_b32 v19, s0, 5
	s_mov_b32 s72, s93
	;; [unrolled: 5-line block ×3, first 2 shown]
	s_mov_b32 s1, s83
	s_mov_b32 s10, s94
	;; [unrolled: 1-line block ×3, first 2 shown]
	v_writelane_b32 v19, s0, 7
	s_sub_co_i32 s85, 0, s94
	v_writelane_b32 v18, s6, 0
	s_mov_b32 s35, s83
	s_load_b32 s70, s[78:79], 0x4
	v_writelane_b32 v19, s1, 8
	s_mov_b32 s0, s86
	s_mov_b32 s1, s83
	v_writelane_b32 v18, s7, 1
	s_mov_b32 s87, s83
	v_writelane_b32 v19, s0, 9
	s_mov_b32 s37, s83
	s_mov_b32 s11, s86
	v_writelane_b32 v18, s10, 2
	v_cmp_gt_i64_e64 s14, s[20:21], s[86:87]
	v_writelane_b32 v19, s1, 10
	s_lshl_b64 s[0:1], s[88:89], 1
	s_mov_b32 s97, s83
	v_writelane_b32 v18, s34, 3
	s_mov_b32 s39, s83
	v_writelane_b32 v19, s0, 11
	s_mov_b32 s71, s83
	s_mov_b32 s47, s83
	v_writelane_b32 v18, s35, 4
	v_lshlrev_b64_e32 v[4:5], 1, v[0:1]
	v_writelane_b32 v19, s1, 12
	s_lshl_b64 s[0:1], s[4:5], 1
	s_mov_b32 s40, s24
	v_writelane_b32 v18, s36, 5
	s_mov_b32 s41, s25
	v_writelane_b32 v19, s0, 13
	s_mov_b32 s42, s24
	s_mov_b32 s43, s25
	v_writelane_b32 v18, s37, 6
	s_mov_b32 s44, s24
	v_writelane_b32 v19, s1, 14
	s_mov_b32 s45, s25
	s_mov_b32 s53, s19
	v_writelane_b32 v18, s38, 7
	s_mov_b64 s[76:77], 0xffffffff
	v_writelane_b32 v19, s88, 15
	v_writelane_b32 v18, s39, 8
	v_writelane_b32 v19, s89, 16
	v_writelane_b32 v18, s46, 9
	v_writelane_b32 v19, s90, 17
	v_writelane_b32 v18, s47, 10
	v_writelane_b32 v19, s91, 18
	v_writelane_b32 v18, s12, 11
	v_writelane_b32 v19, s92, 19
	v_writelane_b32 v18, s13, 12
	v_writelane_b32 v19, s93, 20
	v_writelane_b32 v19, s94, 21
	s_wait_xcnt 0x0
	v_writelane_b32 v19, s78, 22
	v_writelane_b32 v19, s79, 23
	;; [unrolled: 1-line block ×6, first 2 shown]
	s_wait_kmcnt 0x0
	v_writelane_b32 v19, s70, 28
	v_writelane_b32 v19, s71, 29
	;; [unrolled: 1-line block ×4, first 2 shown]
	s_branch .LBB45_4
.LBB45_3:                               ;   in Loop: Header=BB45_4 Depth=1
	s_add_nc_u64 s[2:3], s[2:3], s[70:71]
	s_delay_alu instid0(SALU_CYCLE_1)
	v_cmp_ge_i64_e64 s0, s[2:3], s[90:91]
	s_and_b32 vcc_lo, exec_lo, s0
	s_cbranch_vccnz .LBB45_17
.LBB45_4:                               ; =>This Loop Header: Depth=1
                                        ;     Child Loop BB45_12 Depth 2
                                        ;     Child Loop BB45_16 Depth 2
	s_and_not1_b32 vcc_lo, exec_lo, s14
	s_cbranch_vccnz .LBB45_3
; %bb.5:                                ;   in Loop: Header=BB45_4 Depth=1
	s_load_b32 s18, s[78:79], 0x8
	s_mov_b32 s19, s83
	s_mov_b32 s28, s14
	;; [unrolled: 1-line block ×3, first 2 shown]
	s_wait_kmcnt 0x0
	s_add_nc_u64 s[4:5], s[86:87], s[18:19]
	s_delay_alu instid0(SALU_CYCLE_1) | instskip(SKIP_1) | instid1(VALU_DEP_1)
	v_max_i64 v[6:7], s[20:21], s[4:5]
	v_cmp_lt_i64_e64 s30, s[4:5], s[20:21]
	v_cndmask_b32_e64 v8, 0, 1, s30
	s_delay_alu instid0(VALU_DEP_1) | instskip(NEXT) | instid1(VALU_DEP_4)
	v_readfirstlane_b32 s82, v8
	v_readfirstlane_b32 s22, v6
	v_readfirstlane_b32 s23, v7
	s_sub_nc_u64 s[22:23], s[22:23], s[82:83]
	s_delay_alu instid0(SALU_CYCLE_1) | instskip(NEXT) | instid1(SALU_CYCLE_1)
	s_sub_nc_u64 s[22:23], s[22:23], s[4:5]
	s_and_b64 s[4:5], s[22:23], 0xffffffff00000000
	s_delay_alu instid0(SALU_CYCLE_1)
	s_cmp_lg_u64 s[4:5], 0
	s_cbranch_scc0 .LBB45_7
; %bb.6:                                ;   in Loop: Header=BB45_4 Depth=1
	s_cvt_f32_u32 s0, s18
	s_mov_b32 s1, 0x4f800000
	s_sub_nc_u64 s[70:71], 0, s[18:19]
	s_delay_alu instid0(SALU_CYCLE_1) | instskip(NEXT) | instid1(SALU_CYCLE_3)
	s_fmamk_f32 s0, s1, 0x0, s0
	v_s_rcp_f32 s0, s0
	s_delay_alu instid0(TRANS32_DEP_1) | instskip(NEXT) | instid1(SALU_CYCLE_3)
	s_mul_f32 s0, s0, 0x5f7ffffc
	s_mul_f32 s1, s0, 0x2f800000
	s_delay_alu instid0(SALU_CYCLE_3) | instskip(NEXT) | instid1(SALU_CYCLE_3)
	s_trunc_f32 s1, s1
	s_fmamk_f32 s0, s1, 0xcf800000, s0
	s_cvt_u32_f32 s5, s1
	s_delay_alu instid0(SALU_CYCLE_2) | instskip(NEXT) | instid1(SALU_CYCLE_3)
	s_cvt_u32_f32 s4, s0
	s_mul_u64 s[72:73], s[70:71], s[4:5]
	s_delay_alu instid0(SALU_CYCLE_1)
	s_mul_hi_u32 s75, s4, s73
	s_mul_i32 s74, s4, s73
	s_mul_hi_u32 s82, s4, s72
	s_mul_i32 s1, s5, s72
	s_add_nc_u64 s[74:75], s[82:83], s[74:75]
	s_mul_hi_u32 s0, s5, s72
	s_mul_hi_u32 s16, s5, s73
	s_add_co_u32 s1, s74, s1
	s_add_co_ci_u32 s82, s75, s0
	s_mul_i32 s72, s5, s73
	s_add_co_ci_u32 s73, s16, 0
	s_delay_alu instid0(SALU_CYCLE_1) | instskip(NEXT) | instid1(SALU_CYCLE_1)
	s_add_nc_u64 s[72:73], s[82:83], s[72:73]
	s_add_co_u32 s4, s4, s72
	s_cselect_b32 s0, -1, 0
	s_delay_alu instid0(SALU_CYCLE_1) | instskip(SKIP_1) | instid1(SALU_CYCLE_1)
	s_cmp_lg_u32 s0, 0
	s_add_co_ci_u32 s5, s5, s73
	s_mul_u64 s[70:71], s[70:71], s[4:5]
	s_delay_alu instid0(SALU_CYCLE_1)
	s_mul_hi_u32 s73, s4, s71
	s_mul_i32 s72, s4, s71
	s_mul_hi_u32 s82, s4, s70
	s_mul_i32 s1, s5, s70
	s_add_nc_u64 s[72:73], s[82:83], s[72:73]
	s_mul_hi_u32 s0, s5, s70
	s_mul_hi_u32 s16, s5, s71
	s_add_co_u32 s1, s72, s1
	s_add_co_ci_u32 s82, s73, s0
	s_mul_i32 s70, s5, s71
	s_add_co_ci_u32 s71, s16, 0
	s_delay_alu instid0(SALU_CYCLE_1) | instskip(NEXT) | instid1(SALU_CYCLE_1)
	s_add_nc_u64 s[70:71], s[82:83], s[70:71]
	s_add_co_u32 s0, s4, s70
	s_cselect_b32 s1, -1, 0
	s_mul_hi_u32 s82, s22, s0
	s_cmp_lg_u32 s1, 0
	s_mul_hi_u32 s1, s23, s0
	s_add_co_ci_u32 s16, s5, s71
	s_mul_i32 s0, s23, s0
	s_mul_hi_u32 s5, s22, s16
	s_mul_i32 s4, s22, s16
	s_mul_hi_u32 s17, s23, s16
	s_add_nc_u64 s[4:5], s[82:83], s[4:5]
	s_mul_i32 s70, s23, s16
	s_add_co_u32 s0, s4, s0
	s_add_co_ci_u32 s82, s5, s1
	s_add_co_ci_u32 s71, s17, 0
	s_delay_alu instid0(SALU_CYCLE_1) | instskip(NEXT) | instid1(SALU_CYCLE_1)
	s_add_nc_u64 s[4:5], s[82:83], s[70:71]
	s_and_b64 s[70:71], s[4:5], 0xffffffff00000000
	s_delay_alu instid0(SALU_CYCLE_1) | instskip(NEXT) | instid1(SALU_CYCLE_1)
	s_or_b32 s70, s70, s4
	s_mul_u64 s[4:5], s[18:19], s[70:71]
	s_add_nc_u64 s[72:73], s[70:71], 2
	s_sub_co_u32 s0, s22, s4
	s_cselect_b32 s1, -1, 0
	s_delay_alu instid0(SALU_CYCLE_1) | instskip(SKIP_3) | instid1(SALU_CYCLE_1)
	s_cmp_lg_u32 s1, 0
	s_sub_co_ci_u32 s1, s23, s5
	s_sub_co_u32 s4, s0, s18
	s_cselect_b32 s5, -1, 0
	s_cmp_lg_u32 s5, 0
	s_sub_co_ci_u32 s5, s1, 0
	s_cmp_ge_u32 s4, s18
	s_cselect_b32 s16, -1, 0
	s_cmp_eq_u32 s5, 0
	s_add_nc_u64 s[4:5], s[70:71], 1
	s_cselect_b32 s16, s16, -1
	s_delay_alu instid0(SALU_CYCLE_1)
	s_cmp_lg_u32 s16, 0
	s_cselect_b32 s4, s72, s4
	s_cselect_b32 s5, s73, s5
	s_cmp_ge_u32 s0, s18
	s_cselect_b32 s0, -1, 0
	s_cmp_eq_u32 s1, 0
	s_cselect_b32 s0, s0, -1
	s_delay_alu instid0(SALU_CYCLE_1)
	s_cmp_lg_u32 s0, 0
	s_mov_b32 s0, 0
	s_cselect_b32 s5, s5, s71
	s_cselect_b32 s4, s4, s70
	s_branch .LBB45_8
.LBB45_7:                               ;   in Loop: Header=BB45_4 Depth=1
	s_mov_b32 s0, -1
                                        ; implicit-def: $sgpr4_sgpr5
.LBB45_8:                               ;   in Loop: Header=BB45_4 Depth=1
	v_readlane_b32 s12, v19, 0
	v_readlane_b32 s13, v19, 1
	s_and_not1_b32 vcc_lo, exec_lo, s0
	v_readlane_b32 s14, v19, 2
	v_readlane_b32 s15, v19, 3
	s_cbranch_vccnz .LBB45_10
; %bb.9:                                ;   in Loop: Header=BB45_4 Depth=1
	v_cvt_f32_u32_e32 v6, s18
	s_sub_co_i32 s1, 0, s18
	s_delay_alu instid0(VALU_DEP_1) | instskip(SKIP_1) | instid1(TRANS32_DEP_1)
	v_rcp_iflag_f32_e32 v6, v6
	v_nop
	v_mul_f32_e32 v6, 0x4f7ffffe, v6
	s_delay_alu instid0(VALU_DEP_1) | instskip(NEXT) | instid1(VALU_DEP_1)
	v_cvt_u32_f32_e32 v6, v6
	v_readfirstlane_b32 s0, v6
	s_mul_i32 s1, s1, s0
	s_delay_alu instid0(SALU_CYCLE_1) | instskip(NEXT) | instid1(SALU_CYCLE_1)
	s_mul_hi_u32 s1, s0, s1
	s_add_co_i32 s0, s0, s1
	s_delay_alu instid0(SALU_CYCLE_1) | instskip(NEXT) | instid1(SALU_CYCLE_1)
	s_mul_hi_u32 s0, s22, s0
	s_mul_i32 s1, s0, s18
	s_add_co_i32 s4, s0, 1
	s_sub_co_i32 s1, s22, s1
	s_delay_alu instid0(SALU_CYCLE_1)
	s_sub_co_i32 s5, s1, s18
	s_cmp_ge_u32 s1, s18
	s_cselect_b32 s0, s4, s0
	s_cselect_b32 s1, s5, s1
	s_add_co_i32 s4, s0, 1
	s_cmp_ge_u32 s1, s18
	s_cselect_b32 s82, s4, s0
	s_delay_alu instid0(SALU_CYCLE_1)
	s_mov_b64 s[4:5], s[82:83]
.LBB45_10:                              ;   in Loop: Header=BB45_4 Depth=1
	s_and_b32 s0, s30, exec_lo
	s_cselect_b32 s82, 2, 1
	s_mul_u64 s[80:81], s[2:3], s[12:13]
	s_add_nc_u64 s[6:7], s[82:83], s[4:5]
	s_mov_b32 s0, -1
	v_cmp_lt_u64_e64 s1, s[6:7], 4
	s_mov_b64 s[4:5], s[86:87]
	s_mov_b32 s72, s104
	s_mov_b32 s14, s28
	s_and_b32 vcc_lo, exec_lo, s1
	s_cbranch_vccnz .LBB45_14
; %bb.11:                               ;   in Loop: Header=BB45_4 Depth=1
	v_writelane_b32 v18, s6, 13
	v_readlane_b32 s0, v19, 9
	v_readlane_b32 s1, v19, 10
	s_mul_u64 s[4:5], s[18:19], 3
	s_and_b64 vcc, s[6:7], -4
	v_writelane_b32 v18, s7, 14
	s_lshl_b64 s[22:23], s[18:19], 1
	s_add_nc_u64 s[92:93], s[0:1], s[4:5]
	v_readlane_b32 s0, v19, 7
	v_readlane_b32 s1, v19, 8
	v_writelane_b32 v18, vcc_lo, 15
	v_readlane_b32 s26, v19, 30
	v_readlane_b32 s27, v19, 31
	s_lshl_b64 s[100:101], s[18:19], 2
	s_add_nc_u64 s[94:95], s[0:1], s[22:23]
	v_readlane_b32 s0, v19, 5
	v_readlane_b32 s1, v19, 6
	v_writelane_b32 v18, vcc_hi, 16
	s_mov_b32 s86, s2
	s_mov_b32 s87, s3
	s_mov_b32 s88, s2
	s_add_nc_u64 s[28:29], s[0:1], s[18:19]
	v_readlane_b32 s0, v19, 4
	v_readlane_b32 s34, v18, 3
	;; [unrolled: 1-line block ×14, first 2 shown]
	s_mov_b32 s89, s3
	s_mov_b32 s90, s2
	;; [unrolled: 1-line block ×7, first 2 shown]
	s_wait_xcnt 0x0
	s_mov_b32 s78, s100
	s_mov_b32 s79, s101
	;; [unrolled: 1-line block ×4, first 2 shown]
.LBB45_12:                              ;   Parent Loop BB45_4 Depth=1
                                        ; =>  This Inner Loop Header: Depth=2
	s_and_b64 s[4:5], s[98:99], s[76:77]
	s_mov_b32 s82, s28
	s_mov_b32 s74, s94
	;; [unrolled: 1-line block ×3, first 2 shown]
	s_mul_u64 s[4:5], s[4:5], s[34:35]
	s_mul_u64 s[16:17], s[82:83], s[36:37]
	s_mov_b32 s22, s92
	s_mov_b32 s23, s83
	s_add_co_i32 s0, s5, s98
	s_add_co_i32 s4, s17, s28
	s_mul_u64 s[16:17], s[74:75], s[38:39]
	s_mul_u64 s[22:23], s[22:23], s[46:47]
	s_add_co_i32 s16, s17, s94
	s_lshr_b32 s30, s0, s33
	s_add_co_i32 s22, s23, s92
	s_lshr_b32 s0, s4, s72
	s_lshr_b32 s96, s16, s26
	s_mul_i32 s4, s30, s6
	s_mov_b32 s31, s83
	s_mov_b32 s1, s83
	s_lshr_b32 s16, s22, s27
	s_mul_i32 s22, s0, s7
	s_mov_b32 s97, s83
	s_sub_co_i32 s82, s98, s4
	s_mul_i32 s4, s96, s10
	s_mov_b32 s73, s83
	s_mul_u64 s[30:31], s[24:25], s[30:31]
	s_sub_co_i32 s72, s28, s22
	s_mul_u64 s[0:1], s[40:41], s[0:1]
	s_mov_b32 s5, s83
	s_mov_b32 s17, s83
	s_mul_i32 s22, s16, s84
	s_sub_co_i32 s4, s94, s4
	s_mul_u64 s[96:97], s[42:43], s[96:97]
	s_lshl_b64 s[30:31], s[30:31], 1
	s_mul_u64 s[74:75], s[12:13], s[82:83]
	s_lshl_b64 s[0:1], s[0:1], 1
	s_mul_u64 s[72:73], s[48:49], s[72:73]
	s_mov_b32 s23, s83
	s_sub_co_i32 s22, s92, s22
	s_mul_u64 s[16:17], s[44:45], s[16:17]
	s_lshl_b64 s[96:97], s[96:97], 1
	s_mul_u64 s[4:5], s[50:51], s[4:5]
	s_add_nc_u64 s[30:31], s[8:9], s[30:31]
	s_lshl_b64 s[74:75], s[74:75], 1
	s_add_nc_u64 s[0:1], s[8:9], s[0:1]
	s_lshl_b64 s[72:73], s[72:73], 1
	s_lshl_b64 s[16:17], s[16:17], 1
	s_add_nc_u64 s[96:97], s[8:9], s[96:97]
	s_mul_u64 s[22:23], s[52:53], s[22:23]
	s_lshl_b64 s[4:5], s[4:5], 1
	s_add_nc_u64 s[30:31], s[30:31], s[74:75]
	s_lshl_b64 s[74:75], s[80:81], 1
	s_add_nc_u64 s[0:1], s[0:1], s[72:73]
	s_add_nc_u64 s[16:17], s[8:9], s[16:17]
	s_lshl_b64 s[22:23], s[22:23], 1
	s_add_nc_u64 s[4:5], s[96:97], s[4:5]
	s_add_nc_u64 s[0:1], s[0:1], s[74:75]
	;; [unrolled: 1-line block ×5, first 2 shown]
	s_wait_xcnt 0x3
	v_add_nc_u64_e32 v[6:7], s[0:1], v[4:5]
	s_add_nc_u64 s[16:17], s[16:17], s[74:75]
	s_wait_xcnt 0x2
	v_add_nc_u64_e32 v[8:9], s[4:5], v[4:5]
	s_wait_xcnt 0x1
	v_add_nc_u64_e32 v[10:11], s[22:23], v[4:5]
	;; [unrolled: 2-line block ×3, first 2 shown]
	s_clause 0x3
	global_load_u16 v14, v[6:7], off
	global_load_u16 v15, v[8:9], off
	;; [unrolled: 1-line block ×4, first 2 shown]
	s_mul_u64 s[22:23], s[98:99], s[54:55]
	s_mul_u64 s[16:17], s[28:29], s[56:57]
	;; [unrolled: 1-line block ×3, first 2 shown]
	s_add_nc_u64 s[22:23], s[22:23], s[2:3]
	s_mul_u64 s[0:1], s[92:93], s[60:61]
	s_add_nc_u64 s[16:17], s[16:17], s[86:87]
	s_add_nc_u64 s[4:5], s[4:5], s[88:89]
	s_mul_u64 s[22:23], s[22:23], s[62:63]
	s_add_nc_u64 s[0:1], s[0:1], s[90:91]
	s_mul_u64 s[16:17], s[16:17], s[64:65]
	s_mul_u64 s[4:5], s[4:5], s[66:67]
	s_wait_xcnt 0x3
	v_lshl_add_u64 v[6:7], s[22:23], 1, v[2:3]
	s_add_nc_u64 vcc, vcc, -4
	s_mul_u64 s[0:1], s[0:1], s[68:69]
	s_wait_xcnt 0x2
	v_lshl_add_u64 v[8:9], s[16:17], 1, v[2:3]
	s_wait_xcnt 0x1
	v_lshl_add_u64 v[10:11], s[4:5], 1, v[2:3]
	s_mov_b32 s72, s104
	s_wait_xcnt 0x0
	v_lshl_add_u64 v[12:13], s[0:1], 1, v[2:3]
	s_add_nc_u64 s[92:93], s[92:93], s[70:71]
	s_add_nc_u64 s[94:95], s[94:95], s[78:79]
	;; [unrolled: 1-line block ×4, first 2 shown]
	s_cmp_lg_u64 vcc, 0
	s_wait_loadcnt 0x2
	v_dual_lshlrev_b32 v14, 16, v14 :: v_dual_lshlrev_b32 v15, 16, v15
	s_wait_loadcnt 0x0
	v_dual_lshlrev_b32 v16, 16, v16 :: v_dual_lshlrev_b32 v17, 16, v17
	s_delay_alu instid0(VALU_DEP_1) | instskip(NEXT) | instid1(VALU_DEP_2)
	v_cvt_pk_f16_f32 v14, v16, v14
	v_cvt_pk_f16_f32 v15, v15, v17
	s_clause 0x3
	global_store_b16 v[6:7], v14, off
	global_store_d16_hi_b16 v[8:9], v14, off
	global_store_b16 v[10:11], v15, off
	global_store_d16_hi_b16 v[12:13], v15, off
	s_cbranch_scc1 .LBB45_12
; %bb.13:                               ;   in Loop: Header=BB45_4 Depth=1
	v_readlane_b32 s6, v18, 15
	v_readlane_b32 s4, v18, 13
	;; [unrolled: 1-line block ×15, first 2 shown]
	s_mul_u64 s[0:1], s[6:7], s[18:19]
	s_cmp_lg_u64 s[4:5], s[6:7]
	s_add_nc_u64 s[4:5], s[0:1], s[86:87]
	s_cselect_b32 s0, -1, 0
	v_readlane_b32 s89, v19, 16
	v_readlane_b32 s94, v19, 21
.LBB45_14:                              ;   in Loop: Header=BB45_4 Depth=1
	v_readlane_b32 s70, v19, 28
	v_readlane_b32 s100, v19, 0
	v_readlane_b32 s71, v19, 29
	v_readlane_b32 s102, v19, 2
	v_readlane_b32 s103, v19, 3
	s_and_b32 vcc_lo, exec_lo, s0
	v_readlane_b32 s34, v18, 3
	v_readlane_b32 s36, v18, 5
	;; [unrolled: 1-line block ×16, first 2 shown]
	s_cbranch_vccz .LBB45_3
; %bb.15:                               ;   in Loop: Header=BB45_4 Depth=1
	v_readlane_b32 s16, v19, 11
	s_mul_u64 s[0:1], s[90:91], s[4:5]
	v_readlane_b32 s17, v19, 12
	s_add_nc_u64 s[0:1], s[2:3], s[0:1]
	s_wait_xcnt 0x0
	v_mad_nc_u64_u32 v[6:7], s16, s0, v[2:3]
	s_mul_i32 s1, s16, s1
	s_mul_i32 s0, s17, s0
	s_delay_alu instid0(VALU_DEP_1) | instid1(SALU_CYCLE_1)
	v_add3_u32 v7, s1, s0, v7
	v_readlane_b32 s0, v19, 13
	v_readlane_b32 s1, v19, 14
	s_mul_u64 s[22:23], s[0:1], s[18:19]
.LBB45_16:                              ;   Parent Loop BB45_4 Depth=1
                                        ; =>  This Inner Loop Header: Depth=2
	s_and_b64 s[0:1], s[4:5], s[76:77]
	s_mov_b32 s17, s83
	s_mul_u64 s[0:1], s[96:97], s[0:1]
	s_lshl_b64 s[28:29], s[80:81], 1
	s_add_co_i32 s0, s4, s1
	s_delay_alu instid0(SALU_CYCLE_1) | instskip(NEXT) | instid1(SALU_CYCLE_1)
	s_lshr_b32 s16, s0, s93
	s_mul_i32 s30, s85, s16
	s_mul_u64 s[0:1], s[24:25], s[16:17]
	s_add_co_i32 s82, s4, s30
	s_lshl_b64 s[0:1], s[0:1], 1
	s_mul_u64 s[16:17], s[102:103], s[82:83]
	s_add_nc_u64 s[0:1], s[8:9], s[0:1]
	s_lshl_b64 s[16:17], s[16:17], 1
	s_add_nc_u64 s[4:5], s[4:5], s[18:19]
	s_add_nc_u64 s[0:1], s[0:1], s[16:17]
	s_delay_alu instid0(SALU_CYCLE_1)
	s_add_nc_u64 s[0:1], s[0:1], s[28:29]
	s_wait_xcnt 0x2
	v_lshl_add_u64 v[8:9], v[0:1], 1, s[0:1]
	v_cmp_ge_i64_e64 s0, s[4:5], s[20:21]
	global_load_u16 v8, v[8:9], off
	s_and_b32 vcc_lo, exec_lo, s0
	s_wait_loadcnt 0x0
	v_lshlrev_b32_e32 v8, 16, v8
	s_delay_alu instid0(VALU_DEP_1)
	v_cvt_f16_f32_e32 v8, v8
	global_store_b16 v[6:7], v8, off
	s_wait_xcnt 0x0
	v_add_nc_u64_e32 v[6:7], s[22:23], v[6:7]
	s_cbranch_vccz .LBB45_16
	s_branch .LBB45_3
.LBB45_17:
	s_endpgm
	.section	.rodata,"a",@progbits
	.p2align	6, 0x0
	.amdhsa_kernel _ZL13convert_unaryI14__hip_bfloat166__halfEvPKvPT0_lll15HIP_vector_typeIjLj3EElll
		.amdhsa_group_segment_fixed_size 0
		.amdhsa_private_segment_fixed_size 0
		.amdhsa_kernarg_size 336
		.amdhsa_user_sgpr_count 2
		.amdhsa_user_sgpr_dispatch_ptr 0
		.amdhsa_user_sgpr_queue_ptr 0
		.amdhsa_user_sgpr_kernarg_segment_ptr 1
		.amdhsa_user_sgpr_dispatch_id 0
		.amdhsa_user_sgpr_kernarg_preload_length 0
		.amdhsa_user_sgpr_kernarg_preload_offset 0
		.amdhsa_user_sgpr_private_segment_size 0
		.amdhsa_wavefront_size32 1
		.amdhsa_uses_dynamic_stack 0
		.amdhsa_enable_private_segment 0
		.amdhsa_system_sgpr_workgroup_id_x 1
		.amdhsa_system_sgpr_workgroup_id_y 1
		.amdhsa_system_sgpr_workgroup_id_z 1
		.amdhsa_system_sgpr_workgroup_info 0
		.amdhsa_system_vgpr_workitem_id 0
		.amdhsa_next_free_vgpr 20
		.amdhsa_next_free_sgpr 105
		.amdhsa_named_barrier_count 0
		.amdhsa_reserve_vcc 1
		.amdhsa_float_round_mode_32 0
		.amdhsa_float_round_mode_16_64 0
		.amdhsa_float_denorm_mode_32 3
		.amdhsa_float_denorm_mode_16_64 3
		.amdhsa_fp16_overflow 0
		.amdhsa_memory_ordered 1
		.amdhsa_forward_progress 1
		.amdhsa_inst_pref_size 25
		.amdhsa_round_robin_scheduling 0
		.amdhsa_exception_fp_ieee_invalid_op 0
		.amdhsa_exception_fp_denorm_src 0
		.amdhsa_exception_fp_ieee_div_zero 0
		.amdhsa_exception_fp_ieee_overflow 0
		.amdhsa_exception_fp_ieee_underflow 0
		.amdhsa_exception_fp_ieee_inexact 0
		.amdhsa_exception_int_div_zero 0
	.end_amdhsa_kernel
	.section	.text._ZL13convert_unaryI14__hip_bfloat166__halfEvPKvPT0_lll15HIP_vector_typeIjLj3EElll,"axG",@progbits,_ZL13convert_unaryI14__hip_bfloat166__halfEvPKvPT0_lll15HIP_vector_typeIjLj3EElll,comdat
.Lfunc_end45:
	.size	_ZL13convert_unaryI14__hip_bfloat166__halfEvPKvPT0_lll15HIP_vector_typeIjLj3EElll, .Lfunc_end45-_ZL13convert_unaryI14__hip_bfloat166__halfEvPKvPT0_lll15HIP_vector_typeIjLj3EElll
                                        ; -- End function
	.set _ZL13convert_unaryI14__hip_bfloat166__halfEvPKvPT0_lll15HIP_vector_typeIjLj3EElll.num_vgpr, 20
	.set _ZL13convert_unaryI14__hip_bfloat166__halfEvPKvPT0_lll15HIP_vector_typeIjLj3EElll.num_agpr, 0
	.set _ZL13convert_unaryI14__hip_bfloat166__halfEvPKvPT0_lll15HIP_vector_typeIjLj3EElll.numbered_sgpr, 105
	.set _ZL13convert_unaryI14__hip_bfloat166__halfEvPKvPT0_lll15HIP_vector_typeIjLj3EElll.num_named_barrier, 0
	.set _ZL13convert_unaryI14__hip_bfloat166__halfEvPKvPT0_lll15HIP_vector_typeIjLj3EElll.private_seg_size, 0
	.set _ZL13convert_unaryI14__hip_bfloat166__halfEvPKvPT0_lll15HIP_vector_typeIjLj3EElll.uses_vcc, 1
	.set _ZL13convert_unaryI14__hip_bfloat166__halfEvPKvPT0_lll15HIP_vector_typeIjLj3EElll.uses_flat_scratch, 0
	.set _ZL13convert_unaryI14__hip_bfloat166__halfEvPKvPT0_lll15HIP_vector_typeIjLj3EElll.has_dyn_sized_stack, 0
	.set _ZL13convert_unaryI14__hip_bfloat166__halfEvPKvPT0_lll15HIP_vector_typeIjLj3EElll.has_recursion, 0
	.set _ZL13convert_unaryI14__hip_bfloat166__halfEvPKvPT0_lll15HIP_vector_typeIjLj3EElll.has_indirect_call, 0
	.section	.AMDGPU.csdata,"",@progbits
; Kernel info:
; codeLenInByte = 3128
; TotalNumSgprs: 107
; NumVgprs: 20
; ScratchSize: 0
; MemoryBound: 0
; FloatMode: 240
; IeeeMode: 1
; LDSByteSize: 0 bytes/workgroup (compile time only)
; SGPRBlocks: 0
; VGPRBlocks: 1
; NumSGPRsForWavesPerEU: 107
; NumVGPRsForWavesPerEU: 20
; NamedBarCnt: 0
; Occupancy: 16
; WaveLimiterHint : 0
; COMPUTE_PGM_RSRC2:SCRATCH_EN: 0
; COMPUTE_PGM_RSRC2:USER_SGPR: 2
; COMPUTE_PGM_RSRC2:TRAP_HANDLER: 0
; COMPUTE_PGM_RSRC2:TGID_X_EN: 1
; COMPUTE_PGM_RSRC2:TGID_Y_EN: 1
; COMPUTE_PGM_RSRC2:TGID_Z_EN: 1
; COMPUTE_PGM_RSRC2:TIDIG_COMP_CNT: 0
	.section	.text._ZL13convert_unaryIf14__hip_bfloat16EvPKvPT0_lll15HIP_vector_typeIjLj3EElll,"axG",@progbits,_ZL13convert_unaryIf14__hip_bfloat16EvPKvPT0_lll15HIP_vector_typeIjLj3EElll,comdat
	.globl	_ZL13convert_unaryIf14__hip_bfloat16EvPKvPT0_lll15HIP_vector_typeIjLj3EElll ; -- Begin function _ZL13convert_unaryIf14__hip_bfloat16EvPKvPT0_lll15HIP_vector_typeIjLj3EElll
	.p2align	8
	.type	_ZL13convert_unaryIf14__hip_bfloat16EvPKvPT0_lll15HIP_vector_typeIjLj3EElll,@function
_ZL13convert_unaryIf14__hip_bfloat16EvPKvPT0_lll15HIP_vector_typeIjLj3EElll: ; @_ZL13convert_unaryIf14__hip_bfloat16EvPKvPT0_lll15HIP_vector_typeIjLj3EElll
; %bb.0:
	s_clause 0x1
	s_load_b32 s2, s[0:1], 0x5c
	s_load_b128 s[4:7], s[0:1], 0x10
	s_bfe_u32 s3, ttmp6, 0x4000c
	s_and_b32 s8, ttmp6, 15
	s_add_co_i32 s3, s3, 1
	s_getreg_b32 s19, hwreg(HW_REG_IB_STS2, 6, 4)
	s_mul_i32 s3, ttmp9, s3
	v_mov_b32_e32 v1, 0
	s_add_co_i32 s8, s8, s3
	s_wait_kmcnt 0x0
	s_and_b32 s2, s2, 0xffff
	s_cmp_eq_u32 s19, 0
	s_cselect_b32 s3, ttmp9, s8
	s_delay_alu instid0(SALU_CYCLE_1) | instskip(SKIP_2) | instid1(VALU_DEP_1)
	v_mad_nc_u64_u32 v[0:1], s2, s3, v[0:1]
	s_mov_b32 s3, 0
	s_mov_b32 s2, exec_lo
	v_cmpx_gt_i64_e64 s[4:5], v[0:1]
	s_cbranch_execz .LBB46_16
; %bb.1:
	s_bfe_u32 s2, ttmp6, 0x40010
	s_load_b64 s[20:21], s[0:1], 0x20
	s_and_b32 s8, ttmp7, 0xffff
	s_add_co_i32 s2, s2, 1
	s_bfe_u32 s9, ttmp6, 0x40004
	s_mul_i32 s2, s8, s2
	s_delay_alu instid0(SALU_CYCLE_1) | instskip(SKIP_2) | instid1(SALU_CYCLE_1)
	s_add_co_i32 s9, s9, s2
	s_cmp_eq_u32 s19, 0
	s_cselect_b32 s2, s8, s9
	v_cmp_le_i64_e64 s8, s[6:7], s[2:3]
	s_and_b32 vcc_lo, exec_lo, s8
	s_cbranch_vccnz .LBB46_16
; %bb.2:
	s_clause 0x1
	s_load_b128 s[8:11], s[0:1], 0x0
	s_load_b96 s[16:18], s[0:1], 0x28
	s_add_nc_u64 s[22:23], s[0:1], 0x50
	s_clause 0x1
	s_load_b128 s[12:15], s[0:1], 0x38
	s_load_b64 s[24:25], s[0:1], 0x48
	s_load_b32 s30, s[22:23], 0x4
	s_bfe_u32 s26, ttmp6, 0x40014
	s_wait_xcnt 0x0
	s_lshr_b32 s0, ttmp7, 16
	s_add_co_i32 s26, s26, 1
	s_bfe_u32 s28, ttmp6, 0x40008
	s_mul_i32 s26, s0, s26
	s_mov_b32 s1, 0
	s_add_co_i32 s28, s28, s26
	s_cmp_eq_u32 s19, 0
	s_mov_b32 s27, s1
	s_cselect_b32 s26, s0, s28
	v_lshlrev_b64_e32 v[4:5], 2, v[0:1]
	s_wait_kmcnt 0x0
	v_cmp_gt_i64_e64 s77, s[20:21], s[26:27]
	s_mul_u64 s[54:55], s[6:7], s[4:5]
	s_mov_b32 s29, s1
	s_mov_b32 s31, s1
	v_lshl_add_u64 v[2:3], v[0:1], 1, s[10:11]
	s_mov_b32 s28, s16
	s_mov_b32 s10, s16
	;; [unrolled: 1-line block ×26, first 2 shown]
	s_lshl_b64 s[52:53], s[4:5], 1
	s_mov_b64 s[4:5], 0xffffffff
	s_lshl_b64 s[54:55], s[54:55], 1
	s_sub_co_i32 s78, 0, s18
	s_mov_b32 s79, 0x4f800000
	s_branch .LBB46_4
.LBB46_3:                               ;   in Loop: Header=BB46_4 Depth=1
	s_add_nc_u64 s[2:3], s[2:3], s[30:31]
	s_delay_alu instid0(SALU_CYCLE_1)
	v_cmp_ge_i64_e64 s0, s[2:3], s[6:7]
	s_and_b32 vcc_lo, exec_lo, s0
	s_cbranch_vccnz .LBB46_16
.LBB46_4:                               ; =>This Loop Header: Depth=1
                                        ;     Child Loop BB46_10 Depth 2
                                        ;     Child Loop BB46_14 Depth 2
	s_and_not1_b32 vcc_lo, exec_lo, s77
	s_cbranch_vccnz .LBB46_3
; %bb.5:                                ;   in Loop: Header=BB46_4 Depth=1
	s_load_b32 s18, s[22:23], 0x8
	s_mov_b32 s19, s1
	s_wait_kmcnt 0x0
	s_add_nc_u64 s[56:57], s[26:27], s[18:19]
	s_delay_alu instid0(SALU_CYCLE_1) | instskip(SKIP_1) | instid1(VALU_DEP_1)
	v_max_i64 v[6:7], s[20:21], s[56:57]
	v_cmp_lt_i64_e64 s60, s[56:57], s[20:21]
	v_cndmask_b32_e64 v8, 0, 1, s60
	s_delay_alu instid0(VALU_DEP_1) | instskip(NEXT) | instid1(VALU_DEP_4)
	v_readfirstlane_b32 s0, v8
	v_readfirstlane_b32 s58, v6
	v_readfirstlane_b32 s59, v7
	s_sub_nc_u64 s[58:59], s[58:59], s[0:1]
	s_delay_alu instid0(SALU_CYCLE_1) | instskip(NEXT) | instid1(SALU_CYCLE_1)
	s_sub_nc_u64 s[56:57], s[58:59], s[56:57]
	s_and_b64 s[58:59], s[56:57], 0xffffffff00000000
	s_delay_alu instid0(SALU_CYCLE_1)
	s_cmp_lg_u64 s[58:59], 0
	s_cbranch_scc0 .LBB46_15
; %bb.6:                                ;   in Loop: Header=BB46_4 Depth=1
	s_cvt_f32_u32 s0, s18
	s_sub_nc_u64 s[62:63], 0, s[18:19]
	s_delay_alu instid0(SALU_CYCLE_2) | instskip(NEXT) | instid1(SALU_CYCLE_3)
	s_fmamk_f32 s0, s79, 0x0, s0
	v_s_rcp_f32 s0, s0
	s_delay_alu instid0(TRANS32_DEP_1) | instskip(NEXT) | instid1(SALU_CYCLE_3)
	s_mul_f32 s0, s0, 0x5f7ffffc
	s_mul_f32 s58, s0, 0x2f800000
	s_delay_alu instid0(SALU_CYCLE_3) | instskip(NEXT) | instid1(SALU_CYCLE_3)
	s_trunc_f32 s58, s58
	s_fmamk_f32 s0, s58, 0xcf800000, s0
	s_cvt_u32_f32 s59, s58
	s_delay_alu instid0(SALU_CYCLE_2) | instskip(NEXT) | instid1(SALU_CYCLE_3)
	s_cvt_u32_f32 s58, s0
	s_mul_u64 s[64:65], s[62:63], s[58:59]
	s_delay_alu instid0(SALU_CYCLE_1)
	s_mul_hi_u32 s67, s58, s65
	s_mul_i32 s66, s58, s65
	s_mul_hi_u32 s0, s58, s64
	s_mul_i32 s68, s59, s64
	s_add_nc_u64 s[66:67], s[0:1], s[66:67]
	s_mul_hi_u32 s61, s59, s64
	s_mul_hi_u32 s69, s59, s65
	s_add_co_u32 s0, s66, s68
	s_add_co_ci_u32 s0, s67, s61
	s_mul_i32 s64, s59, s65
	s_add_co_ci_u32 s65, s69, 0
	s_delay_alu instid0(SALU_CYCLE_1) | instskip(NEXT) | instid1(SALU_CYCLE_1)
	s_add_nc_u64 s[64:65], s[0:1], s[64:65]
	s_add_co_u32 s58, s58, s64
	s_cselect_b32 s0, -1, 0
	s_delay_alu instid0(SALU_CYCLE_1) | instskip(SKIP_1) | instid1(SALU_CYCLE_1)
	s_cmp_lg_u32 s0, 0
	s_add_co_ci_u32 s59, s59, s65
	s_mul_u64 s[62:63], s[62:63], s[58:59]
	s_delay_alu instid0(SALU_CYCLE_1)
	s_mul_hi_u32 s65, s58, s63
	s_mul_i32 s64, s58, s63
	s_mul_hi_u32 s0, s58, s62
	s_mul_i32 s66, s59, s62
	s_add_nc_u64 s[64:65], s[0:1], s[64:65]
	s_mul_hi_u32 s61, s59, s62
	s_mul_hi_u32 s67, s59, s63
	s_add_co_u32 s0, s64, s66
	s_add_co_ci_u32 s0, s65, s61
	s_mul_i32 s62, s59, s63
	s_add_co_ci_u32 s63, s67, 0
	s_delay_alu instid0(SALU_CYCLE_1) | instskip(NEXT) | instid1(SALU_CYCLE_1)
	s_add_nc_u64 s[62:63], s[0:1], s[62:63]
	s_add_co_u32 s58, s58, s62
	s_cselect_b32 s61, -1, 0
	s_mul_hi_u32 s0, s56, s58
	s_cmp_lg_u32 s61, 0
	s_mul_hi_u32 s61, s57, s58
	s_add_co_ci_u32 s62, s59, s63
	s_mul_i32 s63, s57, s58
	s_mul_hi_u32 s59, s56, s62
	s_mul_i32 s58, s56, s62
	s_mul_hi_u32 s64, s57, s62
	s_add_nc_u64 s[58:59], s[0:1], s[58:59]
	s_mul_i32 s62, s57, s62
	s_add_co_u32 s0, s58, s63
	s_add_co_ci_u32 s0, s59, s61
	s_add_co_ci_u32 s63, s64, 0
	s_delay_alu instid0(SALU_CYCLE_1) | instskip(NEXT) | instid1(SALU_CYCLE_1)
	s_add_nc_u64 s[58:59], s[0:1], s[62:63]
	s_and_b64 s[62:63], s[58:59], 0xffffffff00000000
	s_delay_alu instid0(SALU_CYCLE_1) | instskip(NEXT) | instid1(SALU_CYCLE_1)
	s_or_b32 s62, s62, s58
	s_mul_u64 s[58:59], s[18:19], s[62:63]
	s_add_nc_u64 s[64:65], s[62:63], 2
	s_sub_co_u32 s0, s56, s58
	s_cselect_b32 s58, -1, 0
	s_delay_alu instid0(SALU_CYCLE_1) | instskip(SKIP_3) | instid1(SALU_CYCLE_1)
	s_cmp_lg_u32 s58, 0
	s_sub_co_ci_u32 s57, s57, s59
	s_sub_co_u32 s58, s0, s18
	s_cselect_b32 s59, -1, 0
	s_cmp_lg_u32 s59, 0
	s_sub_co_ci_u32 s59, s57, 0
	s_cmp_ge_u32 s58, s18
	s_cselect_b32 s61, -1, 0
	s_cmp_eq_u32 s59, 0
	s_add_nc_u64 s[58:59], s[62:63], 1
	s_cselect_b32 s61, s61, -1
	s_delay_alu instid0(SALU_CYCLE_1)
	s_cmp_lg_u32 s61, 0
	s_cselect_b32 s58, s64, s58
	s_cselect_b32 s59, s65, s59
	s_cmp_ge_u32 s0, s18
	s_cselect_b32 s0, -1, 0
	s_cmp_eq_u32 s57, 0
	s_cselect_b32 s0, s0, -1
	s_delay_alu instid0(SALU_CYCLE_1)
	s_cmp_lg_u32 s0, 0
	s_cselect_b32 s59, s59, s63
	s_cselect_b32 s58, s58, s62
	s_cbranch_execnz .LBB46_8
.LBB46_7:                               ;   in Loop: Header=BB46_4 Depth=1
	v_cvt_f32_u32_e32 v6, s18
	s_sub_co_i32 s57, 0, s18
	s_delay_alu instid0(VALU_DEP_1) | instskip(SKIP_1) | instid1(TRANS32_DEP_1)
	v_rcp_iflag_f32_e32 v6, v6
	v_nop
	v_mul_f32_e32 v6, 0x4f7ffffe, v6
	s_delay_alu instid0(VALU_DEP_1) | instskip(NEXT) | instid1(VALU_DEP_1)
	v_cvt_u32_f32_e32 v6, v6
	v_readfirstlane_b32 s0, v6
	s_mul_i32 s57, s57, s0
	s_delay_alu instid0(SALU_CYCLE_1) | instskip(NEXT) | instid1(SALU_CYCLE_1)
	s_mul_hi_u32 s57, s0, s57
	s_add_co_i32 s0, s0, s57
	s_delay_alu instid0(SALU_CYCLE_1) | instskip(NEXT) | instid1(SALU_CYCLE_1)
	s_mul_hi_u32 s0, s56, s0
	s_mul_i32 s57, s0, s18
	s_delay_alu instid0(SALU_CYCLE_1)
	s_sub_co_i32 s56, s56, s57
	s_add_co_i32 s57, s0, 1
	s_sub_co_i32 s58, s56, s18
	s_cmp_ge_u32 s56, s18
	s_cselect_b32 s0, s57, s0
	s_cselect_b32 s56, s58, s56
	s_add_co_i32 s57, s0, 1
	s_cmp_ge_u32 s56, s18
	s_cselect_b32 s0, s57, s0
	s_delay_alu instid0(SALU_CYCLE_1)
	s_mov_b64 s[58:59], s[0:1]
.LBB46_8:                               ;   in Loop: Header=BB46_4 Depth=1
	s_and_b32 s0, s60, exec_lo
	s_cselect_b32 s0, 2, 1
	s_mul_u64 s[56:57], s[2:3], s[12:13]
	s_add_nc_u64 s[58:59], s[0:1], s[58:59]
	s_mov_b32 s0, -1
	v_cmp_lt_u64_e64 s60, s[58:59], 2
	s_and_b32 vcc_lo, exec_lo, s60
	s_mov_b64 s[60:61], s[26:27]
	s_cbranch_vccnz .LBB46_12
; %bb.9:                                ;   in Loop: Header=BB46_4 Depth=1
	s_and_b64 s[60:61], s[58:59], -2
	s_lshl_b64 s[68:69], s[18:19], 1
	s_mov_b32 s62, s2
	s_mov_b32 s63, s3
	s_add_nc_u64 s[64:65], s[50:51], s[18:19]
	s_mov_b32 s66, s75
	s_mov_b32 s67, s76
	;; [unrolled: 1-line block ×4, first 2 shown]
	s_mov_b64 s[72:73], s[60:61]
.LBB46_10:                              ;   Parent Loop BB46_4 Depth=1
                                        ; =>  This Inner Loop Header: Depth=2
	s_and_b64 s[80:81], s[66:67], s[4:5]
	s_mov_b32 s0, s64
	s_mul_u64 s[80:81], s[80:81], s[10:11]
	s_mul_u64 s[90:91], s[0:1], s[34:35]
	s_add_co_i32 s0, s81, s66
	s_add_co_i32 s80, s91, s64
	s_lshr_b32 s84, s0, s16
	s_lshr_b32 s86, s80, s17
	s_mov_b32 s85, s1
	s_mul_i32 s0, s84, s33
	s_mov_b32 s87, s1
	s_mul_i32 s82, s86, s74
	s_mul_u64 s[84:85], s[24:25], s[84:85]
	s_sub_co_i32 s0, s66, s0
	s_mov_b32 s83, s1
	s_mul_u64 s[80:81], s[36:37], s[86:87]
	s_sub_co_i32 s82, s64, s82
	s_lshl_b64 s[84:85], s[84:85], 2
	s_mul_u64 s[86:87], s[38:39], s[0:1]
	s_lshl_b64 s[80:81], s[80:81], 2
	s_mul_u64 s[82:83], s[40:41], s[82:83]
	s_add_nc_u64 s[84:85], s[8:9], s[84:85]
	s_lshl_b64 s[86:87], s[86:87], 2
	s_add_nc_u64 s[80:81], s[8:9], s[80:81]
	s_lshl_b64 s[82:83], s[82:83], 2
	s_lshl_b64 s[88:89], s[56:57], 2
	s_add_nc_u64 s[84:85], s[84:85], s[86:87]
	s_add_nc_u64 s[80:81], s[80:81], s[82:83]
	s_add_nc_u64 s[82:83], s[84:85], s[88:89]
	s_add_nc_u64 s[80:81], s[80:81], s[88:89]
	s_wait_xcnt 0x0
	v_add_nc_u64_e32 v[6:7], s[82:83], v[4:5]
	v_add_nc_u64_e32 v[8:9], s[80:81], v[4:5]
	s_clause 0x1
	global_load_b32 v10, v[6:7], off
	global_load_b32 v11, v[8:9], off
	s_mul_u64 s[82:83], s[66:67], s[42:43]
	s_mul_u64 s[80:81], s[64:65], s[44:45]
	s_add_nc_u64 s[82:83], s[82:83], s[2:3]
	s_add_nc_u64 s[80:81], s[80:81], s[62:63]
	s_mul_u64 s[82:83], s[82:83], s[46:47]
	s_mul_u64 s[80:81], s[80:81], s[48:49]
	s_wait_xcnt 0x1
	v_lshl_add_u64 v[6:7], s[82:83], 1, v[2:3]
	s_add_nc_u64 s[72:73], s[72:73], -2
	s_wait_xcnt 0x0
	v_lshl_add_u64 v[8:9], s[80:81], 1, v[2:3]
	s_add_nc_u64 s[64:65], s[64:65], s[70:71]
	s_add_nc_u64 s[66:67], s[66:67], s[68:69]
	s_cmp_lg_u64 s[72:73], 0
	s_wait_loadcnt 0x0
	v_cvt_pk_bf16_f32 v10, v10, v11
	s_clause 0x1
	global_store_b16 v[6:7], v10, off
	global_store_d16_hi_b16 v[8:9], v10, off
	s_cbranch_scc1 .LBB46_10
; %bb.11:                               ;   in Loop: Header=BB46_4 Depth=1
	s_mul_u64 s[62:63], s[60:61], s[18:19]
	s_cmp_lg_u64 s[58:59], s[60:61]
	s_add_nc_u64 s[60:61], s[62:63], s[26:27]
	s_cselect_b32 s0, -1, 0
.LBB46_12:                              ;   in Loop: Header=BB46_4 Depth=1
	s_delay_alu instid0(SALU_CYCLE_1)
	s_and_b32 vcc_lo, exec_lo, s0
	s_cbranch_vccz .LBB46_3
; %bb.13:                               ;   in Loop: Header=BB46_4 Depth=1
	s_mul_u64 s[58:59], s[6:7], s[60:61]
	s_delay_alu instid0(SALU_CYCLE_1)
	s_add_nc_u64 s[58:59], s[2:3], s[58:59]
	s_wait_xcnt 0x0
	v_mad_nc_u64_u32 v[6:7], s52, s58, v[2:3]
	s_mul_i32 s0, s53, s58
	s_mul_i32 s58, s52, s59
	s_delay_alu instid0(VALU_DEP_1) | instid1(SALU_CYCLE_1)
	v_add3_u32 v7, s58, s0, v7
	s_mul_u64 s[58:59], s[54:55], s[18:19]
.LBB46_14:                              ;   Parent Loop BB46_4 Depth=1
                                        ; =>  This Inner Loop Header: Depth=2
	s_and_b64 s[62:63], s[60:61], s[4:5]
	s_mov_b32 s65, s1
	s_mul_u64 s[62:63], s[28:29], s[62:63]
	s_lshl_b64 s[66:67], s[56:57], 2
	s_add_co_i32 s0, s60, s63
	s_delay_alu instid0(SALU_CYCLE_1) | instskip(NEXT) | instid1(SALU_CYCLE_1)
	s_lshr_b32 s64, s0, s17
	s_mul_i32 s0, s78, s64
	s_mul_u64 s[62:63], s[24:25], s[64:65]
	s_add_co_i32 s0, s60, s0
	s_lshl_b64 s[62:63], s[62:63], 2
	s_mul_u64 s[64:65], s[14:15], s[0:1]
	s_add_nc_u64 s[62:63], s[8:9], s[62:63]
	s_lshl_b64 s[64:65], s[64:65], 2
	s_add_nc_u64 s[60:61], s[60:61], s[18:19]
	s_add_nc_u64 s[62:63], s[62:63], s[64:65]
	v_cmp_ge_i64_e64 s0, s[60:61], s[20:21]
	s_add_nc_u64 s[62:63], s[62:63], s[66:67]
	s_wait_xcnt 0x0
	v_lshl_add_u64 v[8:9], v[0:1], 2, s[62:63]
	s_and_b32 vcc_lo, exec_lo, s0
	global_load_b32 v8, v[8:9], off
	s_wait_loadcnt 0x0
	v_cvt_pk_bf16_f32 v8, v8, s0
	global_store_b16 v[6:7], v8, off
	s_wait_xcnt 0x0
	v_add_nc_u64_e32 v[6:7], s[58:59], v[6:7]
	s_cbranch_vccz .LBB46_14
	s_branch .LBB46_3
.LBB46_15:                              ;   in Loop: Header=BB46_4 Depth=1
                                        ; implicit-def: $sgpr58_sgpr59
	s_branch .LBB46_7
.LBB46_16:
	s_endpgm
	.section	.rodata,"a",@progbits
	.p2align	6, 0x0
	.amdhsa_kernel _ZL13convert_unaryIf14__hip_bfloat16EvPKvPT0_lll15HIP_vector_typeIjLj3EElll
		.amdhsa_group_segment_fixed_size 0
		.amdhsa_private_segment_fixed_size 0
		.amdhsa_kernarg_size 336
		.amdhsa_user_sgpr_count 2
		.amdhsa_user_sgpr_dispatch_ptr 0
		.amdhsa_user_sgpr_queue_ptr 0
		.amdhsa_user_sgpr_kernarg_segment_ptr 1
		.amdhsa_user_sgpr_dispatch_id 0
		.amdhsa_user_sgpr_kernarg_preload_length 0
		.amdhsa_user_sgpr_kernarg_preload_offset 0
		.amdhsa_user_sgpr_private_segment_size 0
		.amdhsa_wavefront_size32 1
		.amdhsa_uses_dynamic_stack 0
		.amdhsa_enable_private_segment 0
		.amdhsa_system_sgpr_workgroup_id_x 1
		.amdhsa_system_sgpr_workgroup_id_y 1
		.amdhsa_system_sgpr_workgroup_id_z 1
		.amdhsa_system_sgpr_workgroup_info 0
		.amdhsa_system_vgpr_workitem_id 0
		.amdhsa_next_free_vgpr 12
		.amdhsa_next_free_sgpr 92
		.amdhsa_named_barrier_count 0
		.amdhsa_reserve_vcc 1
		.amdhsa_float_round_mode_32 0
		.amdhsa_float_round_mode_16_64 0
		.amdhsa_float_denorm_mode_32 3
		.amdhsa_float_denorm_mode_16_64 3
		.amdhsa_fp16_overflow 0
		.amdhsa_memory_ordered 1
		.amdhsa_forward_progress 1
		.amdhsa_inst_pref_size 14
		.amdhsa_round_robin_scheduling 0
		.amdhsa_exception_fp_ieee_invalid_op 0
		.amdhsa_exception_fp_denorm_src 0
		.amdhsa_exception_fp_ieee_div_zero 0
		.amdhsa_exception_fp_ieee_overflow 0
		.amdhsa_exception_fp_ieee_underflow 0
		.amdhsa_exception_fp_ieee_inexact 0
		.amdhsa_exception_int_div_zero 0
	.end_amdhsa_kernel
	.section	.text._ZL13convert_unaryIf14__hip_bfloat16EvPKvPT0_lll15HIP_vector_typeIjLj3EElll,"axG",@progbits,_ZL13convert_unaryIf14__hip_bfloat16EvPKvPT0_lll15HIP_vector_typeIjLj3EElll,comdat
.Lfunc_end46:
	.size	_ZL13convert_unaryIf14__hip_bfloat16EvPKvPT0_lll15HIP_vector_typeIjLj3EElll, .Lfunc_end46-_ZL13convert_unaryIf14__hip_bfloat16EvPKvPT0_lll15HIP_vector_typeIjLj3EElll
                                        ; -- End function
	.set _ZL13convert_unaryIf14__hip_bfloat16EvPKvPT0_lll15HIP_vector_typeIjLj3EElll.num_vgpr, 12
	.set _ZL13convert_unaryIf14__hip_bfloat16EvPKvPT0_lll15HIP_vector_typeIjLj3EElll.num_agpr, 0
	.set _ZL13convert_unaryIf14__hip_bfloat16EvPKvPT0_lll15HIP_vector_typeIjLj3EElll.numbered_sgpr, 92
	.set _ZL13convert_unaryIf14__hip_bfloat16EvPKvPT0_lll15HIP_vector_typeIjLj3EElll.num_named_barrier, 0
	.set _ZL13convert_unaryIf14__hip_bfloat16EvPKvPT0_lll15HIP_vector_typeIjLj3EElll.private_seg_size, 0
	.set _ZL13convert_unaryIf14__hip_bfloat16EvPKvPT0_lll15HIP_vector_typeIjLj3EElll.uses_vcc, 1
	.set _ZL13convert_unaryIf14__hip_bfloat16EvPKvPT0_lll15HIP_vector_typeIjLj3EElll.uses_flat_scratch, 0
	.set _ZL13convert_unaryIf14__hip_bfloat16EvPKvPT0_lll15HIP_vector_typeIjLj3EElll.has_dyn_sized_stack, 0
	.set _ZL13convert_unaryIf14__hip_bfloat16EvPKvPT0_lll15HIP_vector_typeIjLj3EElll.has_recursion, 0
	.set _ZL13convert_unaryIf14__hip_bfloat16EvPKvPT0_lll15HIP_vector_typeIjLj3EElll.has_indirect_call, 0
	.section	.AMDGPU.csdata,"",@progbits
; Kernel info:
; codeLenInByte = 1700
; TotalNumSgprs: 94
; NumVgprs: 12
; ScratchSize: 0
; MemoryBound: 0
; FloatMode: 240
; IeeeMode: 1
; LDSByteSize: 0 bytes/workgroup (compile time only)
; SGPRBlocks: 0
; VGPRBlocks: 0
; NumSGPRsForWavesPerEU: 94
; NumVGPRsForWavesPerEU: 12
; NamedBarCnt: 0
; Occupancy: 16
; WaveLimiterHint : 0
; COMPUTE_PGM_RSRC2:SCRATCH_EN: 0
; COMPUTE_PGM_RSRC2:USER_SGPR: 2
; COMPUTE_PGM_RSRC2:TRAP_HANDLER: 0
; COMPUTE_PGM_RSRC2:TGID_X_EN: 1
; COMPUTE_PGM_RSRC2:TGID_Y_EN: 1
; COMPUTE_PGM_RSRC2:TGID_Z_EN: 1
; COMPUTE_PGM_RSRC2:TIDIG_COMP_CNT: 0
	.section	.text._ZL16dequantize_blockILi128ELi1EXadL_ZL15dequantize_q1_0PKvliR15HIP_vector_typeIfLj2EEEE14__hip_bfloat16EvS1_PT2_lllS2_IjLj3EElll,"axG",@progbits,_ZL16dequantize_blockILi128ELi1EXadL_ZL15dequantize_q1_0PKvliR15HIP_vector_typeIfLj2EEEE14__hip_bfloat16EvS1_PT2_lllS2_IjLj3EElll,comdat
	.globl	_ZL16dequantize_blockILi128ELi1EXadL_ZL15dequantize_q1_0PKvliR15HIP_vector_typeIfLj2EEEE14__hip_bfloat16EvS1_PT2_lllS2_IjLj3EElll ; -- Begin function _ZL16dequantize_blockILi128ELi1EXadL_ZL15dequantize_q1_0PKvliR15HIP_vector_typeIfLj2EEEE14__hip_bfloat16EvS1_PT2_lllS2_IjLj3EElll
	.p2align	8
	.type	_ZL16dequantize_blockILi128ELi1EXadL_ZL15dequantize_q1_0PKvliR15HIP_vector_typeIfLj2EEEE14__hip_bfloat16EvS1_PT2_lllS2_IjLj3EElll,@function
_ZL16dequantize_blockILi128ELi1EXadL_ZL15dequantize_q1_0PKvliR15HIP_vector_typeIfLj2EEEE14__hip_bfloat16EvS1_PT2_lllS2_IjLj3EElll: ; @_ZL16dequantize_blockILi128ELi1EXadL_ZL15dequantize_q1_0PKvliR15HIP_vector_typeIfLj2EEEE14__hip_bfloat16EvS1_PT2_lllS2_IjLj3EElll
; %bb.0:
	s_clause 0x1
	s_load_b32 s12, s[0:1], 0x5c
	s_load_b128 s[4:7], s[0:1], 0x10
	s_bfe_u32 s2, ttmp6, 0x4000c
	s_and_b32 s3, ttmp6, 15
	s_add_co_i32 s2, s2, 1
	s_getreg_b32 s14, hwreg(HW_REG_IB_STS2, 6, 4)
	s_mul_i32 s2, ttmp9, s2
	v_mov_b32_e32 v1, 0
	s_add_co_i32 s3, s3, s2
	s_cmp_eq_u32 s14, 0
	s_cselect_b32 s13, ttmp9, s3
	s_mov_b32 s3, 0
	s_wait_kmcnt 0x0
	s_and_b32 s2, s12, 0xffff
	s_delay_alu instid0(SALU_CYCLE_1) | instskip(SKIP_1) | instid1(VALU_DEP_1)
	v_mad_nc_u64_u32 v[2:3], s2, s13, v[0:1]
	s_mov_b32 s2, exec_lo
	v_lshlrev_b64_e32 v[6:7], 1, v[2:3]
	s_delay_alu instid0(VALU_DEP_1)
	v_cmpx_gt_i64_e64 s[4:5], v[6:7]
	s_cbranch_execz .LBB47_7
; %bb.1:
	s_bfe_u32 s2, ttmp6, 0x40010
	s_load_b64 s[20:21], s[0:1], 0x20
	s_and_b32 s8, ttmp7, 0xffff
	s_add_co_i32 s2, s2, 1
	s_bfe_u32 s9, ttmp6, 0x40004
	s_mul_i32 s2, s8, s2
	s_delay_alu instid0(SALU_CYCLE_1) | instskip(SKIP_2) | instid1(SALU_CYCLE_1)
	s_add_co_i32 s9, s9, s2
	s_cmp_eq_u32 s14, 0
	s_cselect_b32 s2, s8, s9
	v_cmp_le_i64_e64 s8, s[6:7], s[2:3]
	s_and_b32 vcc_lo, exec_lo, s8
	s_cbranch_vccnz .LBB47_7
; %bb.2:
	s_bfe_u32 s15, ttmp6, 0x40014
	s_lshr_b32 s19, ttmp7, 16
	s_add_co_i32 s15, s15, 1
	v_lshrrev_b64 v[2:3], 6, v[2:3]
	s_mul_i32 s15, s19, s15
	s_bfe_u32 s24, ttmp6, 0x40008
	s_mul_i32 s13, s13, s12
	s_add_co_i32 s24, s24, s15
	s_cmp_eq_u32 s14, 0
	v_add_nc_u16 v0, s13, v0
	s_mov_b32 s25, 0
	s_cselect_b32 s24, s19, s24
	s_clause 0x1
	s_load_b128 s[8:11], s[0:1], 0x0
	s_load_b96 s[16:18], s[0:1], 0x28
	v_lshlrev_b64_e32 v[4:5], 8, v[2:3]
	s_add_nc_u64 s[22:23], s[0:1], 0x50
	s_mul_u64 s[12:13], s[6:7], s[24:25]
	s_load_b32 s26, s[22:23], 0x4
	s_add_nc_u64 s[12:13], s[12:13], s[2:3]
	v_dual_mov_b32 v1, 0 :: v_dual_bitop2_b32 v0, 63, v0 bitop3:0x40
	s_mul_u64 s[12:13], s[4:5], s[12:13]
	s_mov_b32 s27, s25
	v_lshl_add_u64 v[8:9], s[12:13], 1, v[4:5]
	s_clause 0x1
	s_load_b128 s[12:15], s[0:1], 0x38
	s_load_b64 s[28:29], s[0:1], 0x48
	v_dual_mov_b32 v11, v1 :: v_dual_lshlrev_b32 v10, 2, v0
	v_and_b32_e32 v4, 6, v6
	v_bfe_u32 v0, v6, 3, 4
	s_mul_u64 s[34:35], s[6:7], s[4:5]
	s_wait_xcnt 0x0
	s_mov_b64 s[0:1], s[24:25]
	v_add_nc_u64_e32 v[8:9], v[8:9], v[10:11]
	v_or_b32_e32 v5, 1, v4
	s_wait_kmcnt 0x0
	s_mov_b32 s30, s16
	v_cmp_gt_i64_e64 s16, s[20:21], s[24:25]
	s_mov_b32 s31, s25
	s_lshl_b64 s[34:35], s[34:35], 1
	s_sub_co_i32 s33, 0, s18
	v_add_nc_u64_e32 v[6:7], s[10:11], v[8:9]
	s_mul_u64 s[10:11], s[4:5], s[26:27]
	s_mov_b64 s[4:5], 0xffffffff
	s_lshl_b64 s[10:11], s[10:11], 1
	s_branch .LBB47_4
.LBB47_3:                               ;   in Loop: Header=BB47_4 Depth=1
	s_add_nc_u64 s[2:3], s[2:3], s[26:27]
	v_add_nc_u64_e32 v[6:7], s[10:11], v[6:7]
	v_cmp_ge_i64_e64 s18, s[2:3], s[6:7]
	s_and_b32 vcc_lo, exec_lo, s18
	s_cbranch_vccnz .LBB47_7
.LBB47_4:                               ; =>This Loop Header: Depth=1
                                        ;     Child Loop BB47_6 Depth 2
	s_and_not1_b32 vcc_lo, exec_lo, s16
	s_cbranch_vccnz .LBB47_3
; %bb.5:                                ;   in Loop: Header=BB47_4 Depth=1
	s_load_b32 s18, s[22:23], 0x8
	v_mov_b64_e32 v[8:9], v[6:7]
	s_mul_u64 s[36:37], s[2:3], s[12:13]
	s_mov_b32 s19, s25
	s_mul_u64 s[36:37], s[36:37], 18
	s_mov_b64 s[40:41], s[0:1]
	s_wait_kmcnt 0x0
	s_mul_u64 s[38:39], s[34:35], s[18:19]
.LBB47_6:                               ;   Parent Loop BB47_4 Depth=1
                                        ; =>  This Inner Loop Header: Depth=2
	s_and_b64 s[42:43], s[40:41], s[4:5]
	s_mov_b32 s45, s25
	s_mul_u64 s[42:43], s[30:31], s[42:43]
	s_delay_alu instid0(SALU_CYCLE_1) | instskip(NEXT) | instid1(SALU_CYCLE_1)
	s_add_co_i32 s24, s40, s43
	s_lshr_b32 s44, s24, s17
	s_delay_alu instid0(SALU_CYCLE_1)
	s_mul_i32 s24, s33, s44
	s_mul_u64 s[42:43], s[28:29], s[44:45]
	s_add_co_i32 s24, s40, s24
	s_mul_u64 s[42:43], s[42:43], 18
	s_mul_u64 s[44:45], s[14:15], s[24:25]
	s_add_nc_u64 s[42:43], s[8:9], s[42:43]
	s_mul_u64 s[44:45], s[44:45], 18
	s_add_nc_u64 s[40:41], s[40:41], s[18:19]
	s_add_nc_u64 s[42:43], s[42:43], s[44:45]
	v_cmp_ge_i64_e64 s24, s[40:41], s[20:21]
	s_add_nc_u64 s[42:43], s[42:43], s[36:37]
	s_delay_alu instid0(SALU_CYCLE_1) | instskip(SKIP_1) | instid1(VALU_DEP_1)
	v_mad_nc_u64_u32 v[10:11], v2, 18, s[42:43]
	s_and_b32 vcc_lo, exec_lo, s24
	v_mad_u32 v11, v3, 18, v11
	s_delay_alu instid0(VALU_DEP_1)
	v_add_nc_u64_e32 v[12:13], v[10:11], v[0:1]
	s_clause 0x1
	global_load_u16 v14, v[10:11], off
	global_load_u8 v15, v[12:13], off offset:2
	s_wait_loadcnt 0x0
	s_wait_xcnt 0x1
	v_dual_lshrrev_b32 v10, v5, v15 :: v_dual_lshrrev_b32 v11, v4, v15
	s_delay_alu instid0(VALU_DEP_1) | instskip(NEXT) | instid1(VALU_DEP_1)
	v_dual_lshlrev_b32 v10, 1, v10 :: v_dual_lshlrev_b32 v11, 1, v11
	v_and_b32_e32 v11, 2, v11
	s_delay_alu instid0(VALU_DEP_1) | instskip(SKIP_1) | instid1(VALU_DEP_1)
	v_dual_add_nc_u32 v11, -1, v11 :: v_dual_bitop2_b32 v10, 2, v10 bitop3:0x40
	s_wait_xcnt 0x0
	v_add_nc_u32_e32 v12, -1, v10
	v_cvt_f32_f16_e32 v10, v14
	s_delay_alu instid0(VALU_DEP_2) | instskip(SKIP_1) | instid1(VALU_DEP_1)
	v_cvt_f32_i32_e32 v13, v12
	v_cvt_f32_i32_e32 v12, v11
	v_pk_mul_f32 v[10:11], v[10:11], v[12:13] op_sel_hi:[0,1]
	s_delay_alu instid0(VALU_DEP_1)
	v_cvt_pk_bf16_f32 v10, v10, v11
	global_store_b32 v[8:9], v10, off
	s_wait_xcnt 0x0
	v_add_nc_u64_e32 v[8:9], s[38:39], v[8:9]
	s_cbranch_vccz .LBB47_6
	s_branch .LBB47_3
.LBB47_7:
	s_endpgm
	.section	.rodata,"a",@progbits
	.p2align	6, 0x0
	.amdhsa_kernel _ZL16dequantize_blockILi128ELi1EXadL_ZL15dequantize_q1_0PKvliR15HIP_vector_typeIfLj2EEEE14__hip_bfloat16EvS1_PT2_lllS2_IjLj3EElll
		.amdhsa_group_segment_fixed_size 0
		.amdhsa_private_segment_fixed_size 0
		.amdhsa_kernarg_size 336
		.amdhsa_user_sgpr_count 2
		.amdhsa_user_sgpr_dispatch_ptr 0
		.amdhsa_user_sgpr_queue_ptr 0
		.amdhsa_user_sgpr_kernarg_segment_ptr 1
		.amdhsa_user_sgpr_dispatch_id 0
		.amdhsa_user_sgpr_kernarg_preload_length 0
		.amdhsa_user_sgpr_kernarg_preload_offset 0
		.amdhsa_user_sgpr_private_segment_size 0
		.amdhsa_wavefront_size32 1
		.amdhsa_uses_dynamic_stack 0
		.amdhsa_enable_private_segment 0
		.amdhsa_system_sgpr_workgroup_id_x 1
		.amdhsa_system_sgpr_workgroup_id_y 1
		.amdhsa_system_sgpr_workgroup_id_z 1
		.amdhsa_system_sgpr_workgroup_info 0
		.amdhsa_system_vgpr_workitem_id 0
		.amdhsa_next_free_vgpr 16
		.amdhsa_next_free_sgpr 46
		.amdhsa_named_barrier_count 0
		.amdhsa_reserve_vcc 1
		.amdhsa_float_round_mode_32 0
		.amdhsa_float_round_mode_16_64 0
		.amdhsa_float_denorm_mode_32 3
		.amdhsa_float_denorm_mode_16_64 3
		.amdhsa_fp16_overflow 0
		.amdhsa_memory_ordered 1
		.amdhsa_forward_progress 1
		.amdhsa_inst_pref_size 7
		.amdhsa_round_robin_scheduling 0
		.amdhsa_exception_fp_ieee_invalid_op 0
		.amdhsa_exception_fp_denorm_src 0
		.amdhsa_exception_fp_ieee_div_zero 0
		.amdhsa_exception_fp_ieee_overflow 0
		.amdhsa_exception_fp_ieee_underflow 0
		.amdhsa_exception_fp_ieee_inexact 0
		.amdhsa_exception_int_div_zero 0
	.end_amdhsa_kernel
	.section	.text._ZL16dequantize_blockILi128ELi1EXadL_ZL15dequantize_q1_0PKvliR15HIP_vector_typeIfLj2EEEE14__hip_bfloat16EvS1_PT2_lllS2_IjLj3EElll,"axG",@progbits,_ZL16dequantize_blockILi128ELi1EXadL_ZL15dequantize_q1_0PKvliR15HIP_vector_typeIfLj2EEEE14__hip_bfloat16EvS1_PT2_lllS2_IjLj3EElll,comdat
.Lfunc_end47:
	.size	_ZL16dequantize_blockILi128ELi1EXadL_ZL15dequantize_q1_0PKvliR15HIP_vector_typeIfLj2EEEE14__hip_bfloat16EvS1_PT2_lllS2_IjLj3EElll, .Lfunc_end47-_ZL16dequantize_blockILi128ELi1EXadL_ZL15dequantize_q1_0PKvliR15HIP_vector_typeIfLj2EEEE14__hip_bfloat16EvS1_PT2_lllS2_IjLj3EElll
                                        ; -- End function
	.set _ZL16dequantize_blockILi128ELi1EXadL_ZL15dequantize_q1_0PKvliR15HIP_vector_typeIfLj2EEEE14__hip_bfloat16EvS1_PT2_lllS2_IjLj3EElll.num_vgpr, 16
	.set _ZL16dequantize_blockILi128ELi1EXadL_ZL15dequantize_q1_0PKvliR15HIP_vector_typeIfLj2EEEE14__hip_bfloat16EvS1_PT2_lllS2_IjLj3EElll.num_agpr, 0
	.set _ZL16dequantize_blockILi128ELi1EXadL_ZL15dequantize_q1_0PKvliR15HIP_vector_typeIfLj2EEEE14__hip_bfloat16EvS1_PT2_lllS2_IjLj3EElll.numbered_sgpr, 46
	.set _ZL16dequantize_blockILi128ELi1EXadL_ZL15dequantize_q1_0PKvliR15HIP_vector_typeIfLj2EEEE14__hip_bfloat16EvS1_PT2_lllS2_IjLj3EElll.num_named_barrier, 0
	.set _ZL16dequantize_blockILi128ELi1EXadL_ZL15dequantize_q1_0PKvliR15HIP_vector_typeIfLj2EEEE14__hip_bfloat16EvS1_PT2_lllS2_IjLj3EElll.private_seg_size, 0
	.set _ZL16dequantize_blockILi128ELi1EXadL_ZL15dequantize_q1_0PKvliR15HIP_vector_typeIfLj2EEEE14__hip_bfloat16EvS1_PT2_lllS2_IjLj3EElll.uses_vcc, 1
	.set _ZL16dequantize_blockILi128ELi1EXadL_ZL15dequantize_q1_0PKvliR15HIP_vector_typeIfLj2EEEE14__hip_bfloat16EvS1_PT2_lllS2_IjLj3EElll.uses_flat_scratch, 0
	.set _ZL16dequantize_blockILi128ELi1EXadL_ZL15dequantize_q1_0PKvliR15HIP_vector_typeIfLj2EEEE14__hip_bfloat16EvS1_PT2_lllS2_IjLj3EElll.has_dyn_sized_stack, 0
	.set _ZL16dequantize_blockILi128ELi1EXadL_ZL15dequantize_q1_0PKvliR15HIP_vector_typeIfLj2EEEE14__hip_bfloat16EvS1_PT2_lllS2_IjLj3EElll.has_recursion, 0
	.set _ZL16dequantize_blockILi128ELi1EXadL_ZL15dequantize_q1_0PKvliR15HIP_vector_typeIfLj2EEEE14__hip_bfloat16EvS1_PT2_lllS2_IjLj3EElll.has_indirect_call, 0
	.section	.AMDGPU.csdata,"",@progbits
; Kernel info:
; codeLenInByte = 772
; TotalNumSgprs: 48
; NumVgprs: 16
; ScratchSize: 0
; MemoryBound: 0
; FloatMode: 240
; IeeeMode: 1
; LDSByteSize: 0 bytes/workgroup (compile time only)
; SGPRBlocks: 0
; VGPRBlocks: 0
; NumSGPRsForWavesPerEU: 48
; NumVGPRsForWavesPerEU: 16
; NamedBarCnt: 0
; Occupancy: 16
; WaveLimiterHint : 0
; COMPUTE_PGM_RSRC2:SCRATCH_EN: 0
; COMPUTE_PGM_RSRC2:USER_SGPR: 2
; COMPUTE_PGM_RSRC2:TRAP_HANDLER: 0
; COMPUTE_PGM_RSRC2:TGID_X_EN: 1
; COMPUTE_PGM_RSRC2:TGID_Y_EN: 1
; COMPUTE_PGM_RSRC2:TGID_Z_EN: 1
; COMPUTE_PGM_RSRC2:TIDIG_COMP_CNT: 0
	.section	.text._ZL16dequantize_blockILi32ELi2EXadL_ZL15dequantize_q4_0PKvliR15HIP_vector_typeIfLj2EEEE14__hip_bfloat16EvS1_PT2_lllS2_IjLj3EElll,"axG",@progbits,_ZL16dequantize_blockILi32ELi2EXadL_ZL15dequantize_q4_0PKvliR15HIP_vector_typeIfLj2EEEE14__hip_bfloat16EvS1_PT2_lllS2_IjLj3EElll,comdat
	.globl	_ZL16dequantize_blockILi32ELi2EXadL_ZL15dequantize_q4_0PKvliR15HIP_vector_typeIfLj2EEEE14__hip_bfloat16EvS1_PT2_lllS2_IjLj3EElll ; -- Begin function _ZL16dequantize_blockILi32ELi2EXadL_ZL15dequantize_q4_0PKvliR15HIP_vector_typeIfLj2EEEE14__hip_bfloat16EvS1_PT2_lllS2_IjLj3EElll
	.p2align	8
	.type	_ZL16dequantize_blockILi32ELi2EXadL_ZL15dequantize_q4_0PKvliR15HIP_vector_typeIfLj2EEEE14__hip_bfloat16EvS1_PT2_lllS2_IjLj3EElll,@function
_ZL16dequantize_blockILi32ELi2EXadL_ZL15dequantize_q4_0PKvliR15HIP_vector_typeIfLj2EEEE14__hip_bfloat16EvS1_PT2_lllS2_IjLj3EElll: ; @_ZL16dequantize_blockILi32ELi2EXadL_ZL15dequantize_q4_0PKvliR15HIP_vector_typeIfLj2EEEE14__hip_bfloat16EvS1_PT2_lllS2_IjLj3EElll
; %bb.0:
	s_load_b32 s2, s[0:1], 0x5c
	s_bfe_u32 s3, ttmp6, 0x4000c
	s_and_b32 s4, ttmp6, 15
	s_add_co_i32 s3, s3, 1
	s_getreg_b32 s12, hwreg(HW_REG_IB_STS2, 6, 4)
	s_mul_i32 s3, ttmp9, s3
	v_mov_b32_e32 v1, 0
	s_add_co_i32 s3, s4, s3
	s_load_b128 s[4:7], s[0:1], 0x10
	s_wait_kmcnt 0x0
	s_and_b32 s2, s2, 0xffff
	s_cmp_eq_u32 s12, 0
	s_cselect_b32 s3, ttmp9, s3
	s_delay_alu instid0(SALU_CYCLE_1) | instskip(SKIP_2) | instid1(VALU_DEP_1)
	v_mad_nc_u64_u32 v[2:3], s2, s3, v[0:1]
	s_mov_b32 s3, 0
	s_mov_b32 s2, exec_lo
	v_lshlrev_b64_e32 v[0:1], 1, v[2:3]
	s_delay_alu instid0(VALU_DEP_1)
	v_cmpx_gt_i64_e64 s[4:5], v[0:1]
	s_cbranch_execz .LBB48_7
; %bb.1:
	s_bfe_u32 s2, ttmp6, 0x40010
	s_load_b64 s[20:21], s[0:1], 0x20
	s_and_b32 s8, ttmp7, 0xffff
	s_add_co_i32 s2, s2, 1
	s_bfe_u32 s9, ttmp6, 0x40004
	s_mul_i32 s2, s8, s2
	s_delay_alu instid0(SALU_CYCLE_1) | instskip(SKIP_2) | instid1(SALU_CYCLE_1)
	s_add_co_i32 s9, s9, s2
	s_cmp_eq_u32 s12, 0
	s_cselect_b32 s2, s8, s9
	v_cmp_le_i64_e64 s8, s[6:7], s[2:3]
	s_and_b32 vcc_lo, exec_lo, s8
	s_cbranch_vccnz .LBB48_7
; %bb.2:
	s_bfe_u32 s8, ttmp6, 0x40014
	s_lshr_b32 s13, ttmp7, 16
	s_add_co_i32 s8, s8, 1
	v_lshrrev_b64 v[0:1], 4, v[2:3]
	s_mul_i32 s14, s13, s8
	s_bfe_u32 s15, ttmp6, 0x40008
	s_mov_b32 s25, 0
	s_add_co_i32 s15, s15, s14
	s_cmp_eq_u32 s12, 0
	s_clause 0x1
	s_load_b128 s[8:11], s[0:1], 0x0
	s_load_b96 s[16:18], s[0:1], 0x28
	s_cselect_b32 s24, s13, s15
	v_lshlrev_b64_e32 v[4:5], 6, v[0:1]
	s_mul_u64 s[12:13], s[6:7], s[24:25]
	v_dual_mov_b32 v3, 0 :: v_dual_bitop2_b32 v2, 15, v2 bitop3:0x40
	s_add_nc_u64 s[12:13], s[12:13], s[2:3]
	s_add_nc_u64 s[22:23], s[0:1], 0x50
	s_mul_u64 s[12:13], s[4:5], s[12:13]
	s_delay_alu instid0(VALU_DEP_1)
	v_dual_mov_b32 v7, v3 :: v_dual_lshlrev_b32 v6, 1, v2
	v_lshl_add_u64 v[4:5], s[12:13], 1, v[4:5]
	s_load_b32 s26, s[22:23], 0x4
	s_clause 0x1
	s_load_b128 s[12:15], s[0:1], 0x38
	s_load_b64 s[28:29], s[0:1], 0x48
	s_mov_b32 s27, s25
	s_mul_u64 s[34:35], s[6:7], s[4:5]
	v_add_nc_u64_e32 v[4:5], v[4:5], v[6:7]
	s_wait_xcnt 0x0
	s_mov_b32 s1, s25
	s_lshl_b64 s[34:35], s[34:35], 1
	s_wait_kmcnt 0x0
	s_mov_b32 s0, s16
	v_cmp_gt_i64_e64 s16, s[20:21], s[24:25]
	s_sub_co_i32 s33, 0, s18
	v_add_nc_u64_e32 v[4:5], s[10:11], v[4:5]
	s_mov_b64 s[10:11], s[24:25]
	s_delay_alu instid0(VALU_DEP_1)
	v_add_nc_u64_e32 v[4:5], 32, v[4:5]
	s_mul_u64 s[30:31], s[4:5], s[26:27]
	s_mov_b64 s[4:5], 0xffffffff
	s_lshl_b64 s[30:31], s[30:31], 1
	s_branch .LBB48_4
.LBB48_3:                               ;   in Loop: Header=BB48_4 Depth=1
	s_add_nc_u64 s[2:3], s[2:3], s[26:27]
	v_add_nc_u64_e32 v[4:5], s[30:31], v[4:5]
	v_cmp_ge_i64_e64 s18, s[2:3], s[6:7]
	s_and_b32 vcc_lo, exec_lo, s18
	s_cbranch_vccnz .LBB48_7
.LBB48_4:                               ; =>This Loop Header: Depth=1
                                        ;     Child Loop BB48_6 Depth 2
	s_and_not1_b32 vcc_lo, exec_lo, s16
	s_cbranch_vccnz .LBB48_3
; %bb.5:                                ;   in Loop: Header=BB48_4 Depth=1
	s_load_b32 s18, s[22:23], 0x8
	v_mov_b64_e32 v[6:7], v[4:5]
	s_mul_u64 s[36:37], s[2:3], s[12:13]
	s_mov_b32 s19, s25
	s_mul_u64 s[36:37], s[36:37], 18
	s_mov_b64 s[40:41], s[10:11]
	s_wait_kmcnt 0x0
	s_mul_u64 s[38:39], s[34:35], s[18:19]
.LBB48_6:                               ;   Parent Loop BB48_4 Depth=1
                                        ; =>  This Inner Loop Header: Depth=2
	s_and_b64 s[42:43], s[40:41], s[4:5]
	s_mov_b32 s45, s25
	s_mul_u64 s[42:43], s[0:1], s[42:43]
	s_delay_alu instid0(SALU_CYCLE_1) | instskip(NEXT) | instid1(SALU_CYCLE_1)
	s_add_co_i32 s24, s40, s43
	s_lshr_b32 s44, s24, s17
	s_delay_alu instid0(SALU_CYCLE_1)
	s_mul_i32 s24, s33, s44
	s_mul_u64 s[42:43], s[28:29], s[44:45]
	s_add_co_i32 s24, s40, s24
	s_mul_u64 s[42:43], s[42:43], 18
	s_mul_u64 s[44:45], s[14:15], s[24:25]
	s_add_nc_u64 s[42:43], s[8:9], s[42:43]
	s_mul_u64 s[44:45], s[44:45], 18
	s_add_nc_u64 s[40:41], s[40:41], s[18:19]
	s_add_nc_u64 s[42:43], s[42:43], s[44:45]
	v_cmp_ge_i64_e64 s24, s[40:41], s[20:21]
	s_add_nc_u64 s[42:43], s[42:43], s[36:37]
	s_delay_alu instid0(SALU_CYCLE_1) | instskip(SKIP_1) | instid1(VALU_DEP_1)
	v_mad_nc_u64_u32 v[8:9], v0, 18, s[42:43]
	s_and_b32 vcc_lo, exec_lo, s24
	v_mad_u32 v9, v1, 18, v9
	s_delay_alu instid0(VALU_DEP_1)
	v_add_nc_u64_e32 v[10:11], v[8:9], v[2:3]
	s_clause 0x1
	global_load_u16 v12, v[8:9], off
	global_load_u8 v13, v[10:11], off offset:2
	s_wait_loadcnt 0x0
	s_wait_xcnt 0x1
	v_dual_lshrrev_b32 v9, 4, v13 :: v_dual_bitop2_b32 v8, 15, v13 bitop3:0x40
	s_delay_alu instid0(VALU_DEP_1) | instskip(NEXT) | instid1(VALU_DEP_1)
	v_dual_add_nc_u32 v8, -8, v8 :: v_dual_add_nc_u32 v9, -8, v9
	v_cvt_f32_i32_e32 v8, v8
	s_delay_alu instid0(VALU_DEP_2) | instskip(NEXT) | instid1(VALU_DEP_2)
	v_cvt_f32_i32_e32 v9, v9
	v_fma_mixlo_bf16 v8, v12, v8, 0
	s_delay_alu instid0(VALU_DEP_2)
	v_fma_mixlo_bf16 v9, v12, v9, 0
	s_clause 0x1
	global_store_b16 v[6:7], v8, off offset:-32
	global_store_b16 v[6:7], v9, off
	s_wait_xcnt 0x0
	v_add_nc_u64_e32 v[6:7], s[38:39], v[6:7]
	s_cbranch_vccz .LBB48_6
	s_branch .LBB48_3
.LBB48_7:
	s_endpgm
	.section	.rodata,"a",@progbits
	.p2align	6, 0x0
	.amdhsa_kernel _ZL16dequantize_blockILi32ELi2EXadL_ZL15dequantize_q4_0PKvliR15HIP_vector_typeIfLj2EEEE14__hip_bfloat16EvS1_PT2_lllS2_IjLj3EElll
		.amdhsa_group_segment_fixed_size 0
		.amdhsa_private_segment_fixed_size 0
		.amdhsa_kernarg_size 336
		.amdhsa_user_sgpr_count 2
		.amdhsa_user_sgpr_dispatch_ptr 0
		.amdhsa_user_sgpr_queue_ptr 0
		.amdhsa_user_sgpr_kernarg_segment_ptr 1
		.amdhsa_user_sgpr_dispatch_id 0
		.amdhsa_user_sgpr_kernarg_preload_length 0
		.amdhsa_user_sgpr_kernarg_preload_offset 0
		.amdhsa_user_sgpr_private_segment_size 0
		.amdhsa_wavefront_size32 1
		.amdhsa_uses_dynamic_stack 0
		.amdhsa_enable_private_segment 0
		.amdhsa_system_sgpr_workgroup_id_x 1
		.amdhsa_system_sgpr_workgroup_id_y 1
		.amdhsa_system_sgpr_workgroup_id_z 1
		.amdhsa_system_sgpr_workgroup_info 0
		.amdhsa_system_vgpr_workitem_id 0
		.amdhsa_next_free_vgpr 14
		.amdhsa_next_free_sgpr 46
		.amdhsa_named_barrier_count 0
		.amdhsa_reserve_vcc 1
		.amdhsa_float_round_mode_32 0
		.amdhsa_float_round_mode_16_64 0
		.amdhsa_float_denorm_mode_32 3
		.amdhsa_float_denorm_mode_16_64 3
		.amdhsa_fp16_overflow 0
		.amdhsa_memory_ordered 1
		.amdhsa_forward_progress 1
		.amdhsa_inst_pref_size 6
		.amdhsa_round_robin_scheduling 0
		.amdhsa_exception_fp_ieee_invalid_op 0
		.amdhsa_exception_fp_denorm_src 0
		.amdhsa_exception_fp_ieee_div_zero 0
		.amdhsa_exception_fp_ieee_overflow 0
		.amdhsa_exception_fp_ieee_underflow 0
		.amdhsa_exception_fp_ieee_inexact 0
		.amdhsa_exception_int_div_zero 0
	.end_amdhsa_kernel
	.section	.text._ZL16dequantize_blockILi32ELi2EXadL_ZL15dequantize_q4_0PKvliR15HIP_vector_typeIfLj2EEEE14__hip_bfloat16EvS1_PT2_lllS2_IjLj3EElll,"axG",@progbits,_ZL16dequantize_blockILi32ELi2EXadL_ZL15dequantize_q4_0PKvliR15HIP_vector_typeIfLj2EEEE14__hip_bfloat16EvS1_PT2_lllS2_IjLj3EElll,comdat
.Lfunc_end48:
	.size	_ZL16dequantize_blockILi32ELi2EXadL_ZL15dequantize_q4_0PKvliR15HIP_vector_typeIfLj2EEEE14__hip_bfloat16EvS1_PT2_lllS2_IjLj3EElll, .Lfunc_end48-_ZL16dequantize_blockILi32ELi2EXadL_ZL15dequantize_q4_0PKvliR15HIP_vector_typeIfLj2EEEE14__hip_bfloat16EvS1_PT2_lllS2_IjLj3EElll
                                        ; -- End function
	.set _ZL16dequantize_blockILi32ELi2EXadL_ZL15dequantize_q4_0PKvliR15HIP_vector_typeIfLj2EEEE14__hip_bfloat16EvS1_PT2_lllS2_IjLj3EElll.num_vgpr, 14
	.set _ZL16dequantize_blockILi32ELi2EXadL_ZL15dequantize_q4_0PKvliR15HIP_vector_typeIfLj2EEEE14__hip_bfloat16EvS1_PT2_lllS2_IjLj3EElll.num_agpr, 0
	.set _ZL16dequantize_blockILi32ELi2EXadL_ZL15dequantize_q4_0PKvliR15HIP_vector_typeIfLj2EEEE14__hip_bfloat16EvS1_PT2_lllS2_IjLj3EElll.numbered_sgpr, 46
	.set _ZL16dequantize_blockILi32ELi2EXadL_ZL15dequantize_q4_0PKvliR15HIP_vector_typeIfLj2EEEE14__hip_bfloat16EvS1_PT2_lllS2_IjLj3EElll.num_named_barrier, 0
	.set _ZL16dequantize_blockILi32ELi2EXadL_ZL15dequantize_q4_0PKvliR15HIP_vector_typeIfLj2EEEE14__hip_bfloat16EvS1_PT2_lllS2_IjLj3EElll.private_seg_size, 0
	.set _ZL16dequantize_blockILi32ELi2EXadL_ZL15dequantize_q4_0PKvliR15HIP_vector_typeIfLj2EEEE14__hip_bfloat16EvS1_PT2_lllS2_IjLj3EElll.uses_vcc, 1
	.set _ZL16dequantize_blockILi32ELi2EXadL_ZL15dequantize_q4_0PKvliR15HIP_vector_typeIfLj2EEEE14__hip_bfloat16EvS1_PT2_lllS2_IjLj3EElll.uses_flat_scratch, 0
	.set _ZL16dequantize_blockILi32ELi2EXadL_ZL15dequantize_q4_0PKvliR15HIP_vector_typeIfLj2EEEE14__hip_bfloat16EvS1_PT2_lllS2_IjLj3EElll.has_dyn_sized_stack, 0
	.set _ZL16dequantize_blockILi32ELi2EXadL_ZL15dequantize_q4_0PKvliR15HIP_vector_typeIfLj2EEEE14__hip_bfloat16EvS1_PT2_lllS2_IjLj3EElll.has_recursion, 0
	.set _ZL16dequantize_blockILi32ELi2EXadL_ZL15dequantize_q4_0PKvliR15HIP_vector_typeIfLj2EEEE14__hip_bfloat16EvS1_PT2_lllS2_IjLj3EElll.has_indirect_call, 0
	.section	.AMDGPU.csdata,"",@progbits
; Kernel info:
; codeLenInByte = 736
; TotalNumSgprs: 48
; NumVgprs: 14
; ScratchSize: 0
; MemoryBound: 0
; FloatMode: 240
; IeeeMode: 1
; LDSByteSize: 0 bytes/workgroup (compile time only)
; SGPRBlocks: 0
; VGPRBlocks: 0
; NumSGPRsForWavesPerEU: 48
; NumVGPRsForWavesPerEU: 14
; NamedBarCnt: 0
; Occupancy: 16
; WaveLimiterHint : 0
; COMPUTE_PGM_RSRC2:SCRATCH_EN: 0
; COMPUTE_PGM_RSRC2:USER_SGPR: 2
; COMPUTE_PGM_RSRC2:TRAP_HANDLER: 0
; COMPUTE_PGM_RSRC2:TGID_X_EN: 1
; COMPUTE_PGM_RSRC2:TGID_Y_EN: 1
; COMPUTE_PGM_RSRC2:TGID_Z_EN: 1
; COMPUTE_PGM_RSRC2:TIDIG_COMP_CNT: 0
	.section	.text._ZL16dequantize_blockILi32ELi2EXadL_ZL15dequantize_q4_1PKvliR15HIP_vector_typeIfLj2EEEE14__hip_bfloat16EvS1_PT2_lllS2_IjLj3EElll,"axG",@progbits,_ZL16dequantize_blockILi32ELi2EXadL_ZL15dequantize_q4_1PKvliR15HIP_vector_typeIfLj2EEEE14__hip_bfloat16EvS1_PT2_lllS2_IjLj3EElll,comdat
	.globl	_ZL16dequantize_blockILi32ELi2EXadL_ZL15dequantize_q4_1PKvliR15HIP_vector_typeIfLj2EEEE14__hip_bfloat16EvS1_PT2_lllS2_IjLj3EElll ; -- Begin function _ZL16dequantize_blockILi32ELi2EXadL_ZL15dequantize_q4_1PKvliR15HIP_vector_typeIfLj2EEEE14__hip_bfloat16EvS1_PT2_lllS2_IjLj3EElll
	.p2align	8
	.type	_ZL16dequantize_blockILi32ELi2EXadL_ZL15dequantize_q4_1PKvliR15HIP_vector_typeIfLj2EEEE14__hip_bfloat16EvS1_PT2_lllS2_IjLj3EElll,@function
_ZL16dequantize_blockILi32ELi2EXadL_ZL15dequantize_q4_1PKvliR15HIP_vector_typeIfLj2EEEE14__hip_bfloat16EvS1_PT2_lllS2_IjLj3EElll: ; @_ZL16dequantize_blockILi32ELi2EXadL_ZL15dequantize_q4_1PKvliR15HIP_vector_typeIfLj2EEEE14__hip_bfloat16EvS1_PT2_lllS2_IjLj3EElll
; %bb.0:
	s_load_b32 s2, s[0:1], 0x5c
	s_bfe_u32 s3, ttmp6, 0x4000c
	s_and_b32 s4, ttmp6, 15
	s_add_co_i32 s3, s3, 1
	s_getreg_b32 s12, hwreg(HW_REG_IB_STS2, 6, 4)
	s_mul_i32 s3, ttmp9, s3
	v_mov_b32_e32 v1, 0
	s_add_co_i32 s3, s4, s3
	s_load_b128 s[4:7], s[0:1], 0x10
	s_wait_kmcnt 0x0
	s_and_b32 s2, s2, 0xffff
	s_cmp_eq_u32 s12, 0
	s_cselect_b32 s3, ttmp9, s3
	s_delay_alu instid0(SALU_CYCLE_1) | instskip(SKIP_2) | instid1(VALU_DEP_1)
	v_mad_nc_u64_u32 v[2:3], s2, s3, v[0:1]
	s_mov_b32 s3, 0
	s_mov_b32 s2, exec_lo
	v_lshlrev_b64_e32 v[0:1], 1, v[2:3]
	s_delay_alu instid0(VALU_DEP_1)
	v_cmpx_gt_i64_e64 s[4:5], v[0:1]
	s_cbranch_execz .LBB49_7
; %bb.1:
	s_bfe_u32 s2, ttmp6, 0x40010
	s_load_b64 s[20:21], s[0:1], 0x20
	s_and_b32 s8, ttmp7, 0xffff
	s_add_co_i32 s2, s2, 1
	s_bfe_u32 s9, ttmp6, 0x40004
	s_mul_i32 s2, s8, s2
	s_delay_alu instid0(SALU_CYCLE_1) | instskip(SKIP_2) | instid1(SALU_CYCLE_1)
	s_add_co_i32 s9, s9, s2
	s_cmp_eq_u32 s12, 0
	s_cselect_b32 s2, s8, s9
	v_cmp_le_i64_e64 s8, s[6:7], s[2:3]
	s_and_b32 vcc_lo, exec_lo, s8
	s_cbranch_vccnz .LBB49_7
; %bb.2:
	s_bfe_u32 s8, ttmp6, 0x40014
	s_lshr_b32 s13, ttmp7, 16
	s_add_co_i32 s8, s8, 1
	v_lshrrev_b64 v[0:1], 4, v[2:3]
	s_mul_i32 s14, s13, s8
	s_bfe_u32 s15, ttmp6, 0x40008
	s_mov_b32 s25, 0
	s_add_co_i32 s15, s15, s14
	s_cmp_eq_u32 s12, 0
	s_clause 0x1
	s_load_b128 s[8:11], s[0:1], 0x0
	s_load_b96 s[16:18], s[0:1], 0x28
	s_cselect_b32 s24, s13, s15
	v_lshlrev_b64_e32 v[4:5], 6, v[0:1]
	s_mul_u64 s[12:13], s[6:7], s[24:25]
	v_dual_mov_b32 v3, 0 :: v_dual_bitop2_b32 v2, 15, v2 bitop3:0x40
	s_add_nc_u64 s[12:13], s[12:13], s[2:3]
	s_add_nc_u64 s[22:23], s[0:1], 0x50
	s_mul_u64 s[12:13], s[4:5], s[12:13]
	s_delay_alu instid0(VALU_DEP_1)
	v_dual_mov_b32 v7, v3 :: v_dual_lshlrev_b32 v6, 1, v2
	v_lshl_add_u64 v[4:5], s[12:13], 1, v[4:5]
	s_load_b32 s26, s[22:23], 0x4
	s_clause 0x1
	s_load_b128 s[12:15], s[0:1], 0x38
	s_load_b64 s[28:29], s[0:1], 0x48
	s_mov_b32 s27, s25
	s_mul_u64 s[34:35], s[6:7], s[4:5]
	v_add_nc_u64_e32 v[4:5], v[4:5], v[6:7]
	s_wait_xcnt 0x0
	s_mov_b32 s1, s25
	s_lshl_b64 s[34:35], s[34:35], 1
	s_wait_kmcnt 0x0
	s_mov_b32 s0, s16
	v_cmp_gt_i64_e64 s16, s[20:21], s[24:25]
	s_sub_co_i32 s33, 0, s18
	v_add_nc_u64_e32 v[4:5], s[10:11], v[4:5]
	s_mov_b64 s[10:11], s[24:25]
	s_delay_alu instid0(VALU_DEP_1)
	v_add_nc_u64_e32 v[4:5], 32, v[4:5]
	s_mul_u64 s[30:31], s[4:5], s[26:27]
	s_mov_b64 s[4:5], 0xffffffff
	s_lshl_b64 s[30:31], s[30:31], 1
	s_branch .LBB49_4
.LBB49_3:                               ;   in Loop: Header=BB49_4 Depth=1
	s_add_nc_u64 s[2:3], s[2:3], s[26:27]
	v_add_nc_u64_e32 v[4:5], s[30:31], v[4:5]
	v_cmp_ge_i64_e64 s18, s[2:3], s[6:7]
	s_and_b32 vcc_lo, exec_lo, s18
	s_cbranch_vccnz .LBB49_7
.LBB49_4:                               ; =>This Loop Header: Depth=1
                                        ;     Child Loop BB49_6 Depth 2
	s_and_not1_b32 vcc_lo, exec_lo, s16
	s_cbranch_vccnz .LBB49_3
; %bb.5:                                ;   in Loop: Header=BB49_4 Depth=1
	s_load_b32 s18, s[22:23], 0x8
	v_mov_b64_e32 v[6:7], v[4:5]
	s_mul_u64 s[36:37], s[2:3], s[12:13]
	s_mov_b32 s19, s25
	s_mul_u64 s[36:37], s[36:37], 20
	s_mov_b64 s[40:41], s[10:11]
	s_wait_kmcnt 0x0
	s_mul_u64 s[38:39], s[34:35], s[18:19]
.LBB49_6:                               ;   Parent Loop BB49_4 Depth=1
                                        ; =>  This Inner Loop Header: Depth=2
	s_and_b64 s[42:43], s[40:41], s[4:5]
	s_mov_b32 s45, s25
	s_mul_u64 s[42:43], s[0:1], s[42:43]
	s_delay_alu instid0(SALU_CYCLE_1) | instskip(NEXT) | instid1(SALU_CYCLE_1)
	s_add_co_i32 s24, s40, s43
	s_lshr_b32 s44, s24, s17
	s_delay_alu instid0(SALU_CYCLE_1)
	s_mul_i32 s24, s33, s44
	s_mul_u64 s[42:43], s[28:29], s[44:45]
	s_add_co_i32 s24, s40, s24
	s_mul_u64 s[42:43], s[42:43], 20
	s_mul_u64 s[44:45], s[14:15], s[24:25]
	s_add_nc_u64 s[42:43], s[8:9], s[42:43]
	s_mul_u64 s[44:45], s[44:45], 20
	s_add_nc_u64 s[40:41], s[40:41], s[18:19]
	s_add_nc_u64 s[42:43], s[42:43], s[44:45]
	v_cmp_ge_i64_e64 s24, s[40:41], s[20:21]
	s_add_nc_u64 s[42:43], s[42:43], s[36:37]
	s_delay_alu instid0(SALU_CYCLE_1) | instskip(SKIP_1) | instid1(VALU_DEP_1)
	v_mad_nc_u64_u32 v[8:9], v0, 20, s[42:43]
	s_and_b32 vcc_lo, exec_lo, s24
	v_mad_u32 v9, v1, 20, v9
	s_delay_alu instid0(VALU_DEP_1)
	v_add_nc_u64_e32 v[10:11], v[8:9], v[2:3]
	s_clause 0x1
	global_load_b32 v12, v[8:9], off
	global_load_u8 v13, v[10:11], off offset:4
	s_wait_loadcnt 0x0
	s_wait_xcnt 0x0
	v_dual_lshrrev_b32 v10, 16, v12 :: v_dual_bitop2_b32 v8, 15, v13 bitop3:0x40
	v_lshrrev_b32_e32 v9, 4, v13
	s_delay_alu instid0(VALU_DEP_2) | instskip(NEXT) | instid1(VALU_DEP_2)
	v_cvt_f32_ubyte0_e32 v8, v8
	v_cvt_f32_ubyte0_e32 v9, v9
	s_delay_alu instid0(VALU_DEP_2) | instskip(NEXT) | instid1(VALU_DEP_2)
	v_fma_mixlo_bf16 v8, v12, v8, v10
	v_fma_mixlo_bf16 v9, v12, v9, v10
	s_clause 0x1
	global_store_b16 v[6:7], v8, off offset:-32
	global_store_b16 v[6:7], v9, off
	s_wait_xcnt 0x0
	v_add_nc_u64_e32 v[6:7], s[38:39], v[6:7]
	s_cbranch_vccz .LBB49_6
	s_branch .LBB49_3
.LBB49_7:
	s_endpgm
	.section	.rodata,"a",@progbits
	.p2align	6, 0x0
	.amdhsa_kernel _ZL16dequantize_blockILi32ELi2EXadL_ZL15dequantize_q4_1PKvliR15HIP_vector_typeIfLj2EEEE14__hip_bfloat16EvS1_PT2_lllS2_IjLj3EElll
		.amdhsa_group_segment_fixed_size 0
		.amdhsa_private_segment_fixed_size 0
		.amdhsa_kernarg_size 336
		.amdhsa_user_sgpr_count 2
		.amdhsa_user_sgpr_dispatch_ptr 0
		.amdhsa_user_sgpr_queue_ptr 0
		.amdhsa_user_sgpr_kernarg_segment_ptr 1
		.amdhsa_user_sgpr_dispatch_id 0
		.amdhsa_user_sgpr_kernarg_preload_length 0
		.amdhsa_user_sgpr_kernarg_preload_offset 0
		.amdhsa_user_sgpr_private_segment_size 0
		.amdhsa_wavefront_size32 1
		.amdhsa_uses_dynamic_stack 0
		.amdhsa_enable_private_segment 0
		.amdhsa_system_sgpr_workgroup_id_x 1
		.amdhsa_system_sgpr_workgroup_id_y 1
		.amdhsa_system_sgpr_workgroup_id_z 1
		.amdhsa_system_sgpr_workgroup_info 0
		.amdhsa_system_vgpr_workitem_id 0
		.amdhsa_next_free_vgpr 14
		.amdhsa_next_free_sgpr 46
		.amdhsa_named_barrier_count 0
		.amdhsa_reserve_vcc 1
		.amdhsa_float_round_mode_32 0
		.amdhsa_float_round_mode_16_64 0
		.amdhsa_float_denorm_mode_32 3
		.amdhsa_float_denorm_mode_16_64 3
		.amdhsa_fp16_overflow 0
		.amdhsa_memory_ordered 1
		.amdhsa_forward_progress 1
		.amdhsa_inst_pref_size 6
		.amdhsa_round_robin_scheduling 0
		.amdhsa_exception_fp_ieee_invalid_op 0
		.amdhsa_exception_fp_denorm_src 0
		.amdhsa_exception_fp_ieee_div_zero 0
		.amdhsa_exception_fp_ieee_overflow 0
		.amdhsa_exception_fp_ieee_underflow 0
		.amdhsa_exception_fp_ieee_inexact 0
		.amdhsa_exception_int_div_zero 0
	.end_amdhsa_kernel
	.section	.text._ZL16dequantize_blockILi32ELi2EXadL_ZL15dequantize_q4_1PKvliR15HIP_vector_typeIfLj2EEEE14__hip_bfloat16EvS1_PT2_lllS2_IjLj3EElll,"axG",@progbits,_ZL16dequantize_blockILi32ELi2EXadL_ZL15dequantize_q4_1PKvliR15HIP_vector_typeIfLj2EEEE14__hip_bfloat16EvS1_PT2_lllS2_IjLj3EElll,comdat
.Lfunc_end49:
	.size	_ZL16dequantize_blockILi32ELi2EXadL_ZL15dequantize_q4_1PKvliR15HIP_vector_typeIfLj2EEEE14__hip_bfloat16EvS1_PT2_lllS2_IjLj3EElll, .Lfunc_end49-_ZL16dequantize_blockILi32ELi2EXadL_ZL15dequantize_q4_1PKvliR15HIP_vector_typeIfLj2EEEE14__hip_bfloat16EvS1_PT2_lllS2_IjLj3EElll
                                        ; -- End function
	.set _ZL16dequantize_blockILi32ELi2EXadL_ZL15dequantize_q4_1PKvliR15HIP_vector_typeIfLj2EEEE14__hip_bfloat16EvS1_PT2_lllS2_IjLj3EElll.num_vgpr, 14
	.set _ZL16dequantize_blockILi32ELi2EXadL_ZL15dequantize_q4_1PKvliR15HIP_vector_typeIfLj2EEEE14__hip_bfloat16EvS1_PT2_lllS2_IjLj3EElll.num_agpr, 0
	.set _ZL16dequantize_blockILi32ELi2EXadL_ZL15dequantize_q4_1PKvliR15HIP_vector_typeIfLj2EEEE14__hip_bfloat16EvS1_PT2_lllS2_IjLj3EElll.numbered_sgpr, 46
	.set _ZL16dequantize_blockILi32ELi2EXadL_ZL15dequantize_q4_1PKvliR15HIP_vector_typeIfLj2EEEE14__hip_bfloat16EvS1_PT2_lllS2_IjLj3EElll.num_named_barrier, 0
	.set _ZL16dequantize_blockILi32ELi2EXadL_ZL15dequantize_q4_1PKvliR15HIP_vector_typeIfLj2EEEE14__hip_bfloat16EvS1_PT2_lllS2_IjLj3EElll.private_seg_size, 0
	.set _ZL16dequantize_blockILi32ELi2EXadL_ZL15dequantize_q4_1PKvliR15HIP_vector_typeIfLj2EEEE14__hip_bfloat16EvS1_PT2_lllS2_IjLj3EElll.uses_vcc, 1
	.set _ZL16dequantize_blockILi32ELi2EXadL_ZL15dequantize_q4_1PKvliR15HIP_vector_typeIfLj2EEEE14__hip_bfloat16EvS1_PT2_lllS2_IjLj3EElll.uses_flat_scratch, 0
	.set _ZL16dequantize_blockILi32ELi2EXadL_ZL15dequantize_q4_1PKvliR15HIP_vector_typeIfLj2EEEE14__hip_bfloat16EvS1_PT2_lllS2_IjLj3EElll.has_dyn_sized_stack, 0
	.set _ZL16dequantize_blockILi32ELi2EXadL_ZL15dequantize_q4_1PKvliR15HIP_vector_typeIfLj2EEEE14__hip_bfloat16EvS1_PT2_lllS2_IjLj3EElll.has_recursion, 0
	.set _ZL16dequantize_blockILi32ELi2EXadL_ZL15dequantize_q4_1PKvliR15HIP_vector_typeIfLj2EEEE14__hip_bfloat16EvS1_PT2_lllS2_IjLj3EElll.has_indirect_call, 0
	.section	.AMDGPU.csdata,"",@progbits
; Kernel info:
; codeLenInByte = 724
; TotalNumSgprs: 48
; NumVgprs: 14
; ScratchSize: 0
; MemoryBound: 0
; FloatMode: 240
; IeeeMode: 1
; LDSByteSize: 0 bytes/workgroup (compile time only)
; SGPRBlocks: 0
; VGPRBlocks: 0
; NumSGPRsForWavesPerEU: 48
; NumVGPRsForWavesPerEU: 14
; NamedBarCnt: 0
; Occupancy: 16
; WaveLimiterHint : 0
; COMPUTE_PGM_RSRC2:SCRATCH_EN: 0
; COMPUTE_PGM_RSRC2:USER_SGPR: 2
; COMPUTE_PGM_RSRC2:TRAP_HANDLER: 0
; COMPUTE_PGM_RSRC2:TGID_X_EN: 1
; COMPUTE_PGM_RSRC2:TGID_Y_EN: 1
; COMPUTE_PGM_RSRC2:TGID_Z_EN: 1
; COMPUTE_PGM_RSRC2:TIDIG_COMP_CNT: 0
	.section	.text._ZL16dequantize_blockILi32ELi2EXadL_ZL15dequantize_q5_0PKvliR15HIP_vector_typeIfLj2EEEE14__hip_bfloat16EvS1_PT2_lllS2_IjLj3EElll,"axG",@progbits,_ZL16dequantize_blockILi32ELi2EXadL_ZL15dequantize_q5_0PKvliR15HIP_vector_typeIfLj2EEEE14__hip_bfloat16EvS1_PT2_lllS2_IjLj3EElll,comdat
	.globl	_ZL16dequantize_blockILi32ELi2EXadL_ZL15dequantize_q5_0PKvliR15HIP_vector_typeIfLj2EEEE14__hip_bfloat16EvS1_PT2_lllS2_IjLj3EElll ; -- Begin function _ZL16dequantize_blockILi32ELi2EXadL_ZL15dequantize_q5_0PKvliR15HIP_vector_typeIfLj2EEEE14__hip_bfloat16EvS1_PT2_lllS2_IjLj3EElll
	.p2align	8
	.type	_ZL16dequantize_blockILi32ELi2EXadL_ZL15dequantize_q5_0PKvliR15HIP_vector_typeIfLj2EEEE14__hip_bfloat16EvS1_PT2_lllS2_IjLj3EElll,@function
_ZL16dequantize_blockILi32ELi2EXadL_ZL15dequantize_q5_0PKvliR15HIP_vector_typeIfLj2EEEE14__hip_bfloat16EvS1_PT2_lllS2_IjLj3EElll: ; @_ZL16dequantize_blockILi32ELi2EXadL_ZL15dequantize_q5_0PKvliR15HIP_vector_typeIfLj2EEEE14__hip_bfloat16EvS1_PT2_lllS2_IjLj3EElll
; %bb.0:
	s_load_b32 s2, s[0:1], 0x5c
	s_bfe_u32 s3, ttmp6, 0x4000c
	s_and_b32 s4, ttmp6, 15
	s_add_co_i32 s3, s3, 1
	s_getreg_b32 s12, hwreg(HW_REG_IB_STS2, 6, 4)
	s_mul_i32 s3, ttmp9, s3
	v_mov_b32_e32 v1, 0
	s_add_co_i32 s3, s4, s3
	s_load_b128 s[4:7], s[0:1], 0x10
	s_wait_kmcnt 0x0
	s_and_b32 s2, s2, 0xffff
	s_cmp_eq_u32 s12, 0
	s_cselect_b32 s3, ttmp9, s3
	s_delay_alu instid0(SALU_CYCLE_1) | instskip(SKIP_2) | instid1(VALU_DEP_1)
	v_mad_nc_u64_u32 v[2:3], s2, s3, v[0:1]
	s_mov_b32 s3, 0
	s_mov_b32 s2, exec_lo
	v_lshlrev_b64_e32 v[0:1], 1, v[2:3]
	s_delay_alu instid0(VALU_DEP_1)
	v_cmpx_gt_i64_e64 s[4:5], v[0:1]
	s_cbranch_execz .LBB50_7
; %bb.1:
	s_bfe_u32 s2, ttmp6, 0x40010
	s_load_b64 s[20:21], s[0:1], 0x20
	s_and_b32 s8, ttmp7, 0xffff
	s_add_co_i32 s2, s2, 1
	s_bfe_u32 s9, ttmp6, 0x40004
	s_mul_i32 s2, s8, s2
	s_delay_alu instid0(SALU_CYCLE_1) | instskip(SKIP_2) | instid1(SALU_CYCLE_1)
	s_add_co_i32 s9, s9, s2
	s_cmp_eq_u32 s12, 0
	s_cselect_b32 s2, s8, s9
	v_cmp_le_i64_e64 s8, s[6:7], s[2:3]
	s_and_b32 vcc_lo, exec_lo, s8
	s_cbranch_vccnz .LBB50_7
; %bb.2:
	s_bfe_u32 s8, ttmp6, 0x40014
	s_lshr_b32 s13, ttmp7, 16
	s_add_co_i32 s8, s8, 1
	v_lshrrev_b64 v[0:1], 4, v[2:3]
	s_mul_i32 s14, s13, s8
	s_bfe_u32 s15, ttmp6, 0x40008
	s_mov_b32 s25, 0
	s_add_co_i32 s15, s15, s14
	s_cmp_eq_u32 s12, 0
	s_clause 0x1
	s_load_b128 s[8:11], s[0:1], 0x0
	s_load_b96 s[16:18], s[0:1], 0x28
	s_cselect_b32 s24, s13, s15
	v_lshlrev_b64_e32 v[4:5], 6, v[0:1]
	s_mul_u64 s[12:13], s[6:7], s[24:25]
	v_dual_mov_b32 v3, 0 :: v_dual_bitop2_b32 v2, 15, v2 bitop3:0x40
	s_add_nc_u64 s[12:13], s[12:13], s[2:3]
	s_add_nc_u64 s[22:23], s[0:1], 0x50
	s_mul_u64 s[12:13], s[4:5], s[12:13]
	s_delay_alu instid0(VALU_DEP_1)
	v_dual_mov_b32 v7, v3 :: v_dual_lshlrev_b32 v6, 1, v2
	v_lshl_add_u64 v[4:5], s[12:13], 1, v[4:5]
	s_load_b32 s26, s[22:23], 0x4
	s_clause 0x1
	s_load_b128 s[12:15], s[0:1], 0x38
	s_load_b64 s[28:29], s[0:1], 0x48
	s_mov_b32 s27, s25
	v_add_nc_u32_e32 v8, 12, v2
	v_add_nc_u64_e32 v[4:5], v[4:5], v[6:7]
	s_mul_u64 s[34:35], s[6:7], s[4:5]
	s_wait_xcnt 0x0
	s_mov_b32 s1, s25
	s_lshl_b64 s[34:35], s[34:35], 1
	s_wait_kmcnt 0x0
	s_mov_b32 s0, s16
	v_cmp_gt_i64_e64 s16, s[20:21], s[24:25]
	s_sub_co_i32 s33, 0, s18
	v_add_nc_u64_e32 v[4:5], s[10:11], v[4:5]
	s_mov_b64 s[10:11], s[24:25]
	s_delay_alu instid0(VALU_DEP_1)
	v_add_nc_u64_e32 v[4:5], 32, v[4:5]
	s_mul_u64 s[30:31], s[4:5], s[26:27]
	s_mov_b64 s[4:5], 0xffffffff
	s_lshl_b64 s[30:31], s[30:31], 1
	s_branch .LBB50_4
.LBB50_3:                               ;   in Loop: Header=BB50_4 Depth=1
	s_add_nc_u64 s[2:3], s[2:3], s[26:27]
	v_add_nc_u64_e32 v[4:5], s[30:31], v[4:5]
	v_cmp_ge_i64_e64 s18, s[2:3], s[6:7]
	s_and_b32 vcc_lo, exec_lo, s18
	s_cbranch_vccnz .LBB50_7
.LBB50_4:                               ; =>This Loop Header: Depth=1
                                        ;     Child Loop BB50_6 Depth 2
	s_and_not1_b32 vcc_lo, exec_lo, s16
	s_cbranch_vccnz .LBB50_3
; %bb.5:                                ;   in Loop: Header=BB50_4 Depth=1
	s_load_b32 s18, s[22:23], 0x8
	v_mov_b64_e32 v[6:7], v[4:5]
	s_mul_u64 s[36:37], s[2:3], s[12:13]
	s_mov_b32 s19, s25
	s_mul_u64 s[36:37], s[36:37], 22
	s_mov_b64 s[40:41], s[10:11]
	s_wait_kmcnt 0x0
	s_mul_u64 s[38:39], s[34:35], s[18:19]
.LBB50_6:                               ;   Parent Loop BB50_4 Depth=1
                                        ; =>  This Inner Loop Header: Depth=2
	s_and_b64 s[42:43], s[40:41], s[4:5]
	s_mov_b32 s45, s25
	s_mul_u64 s[42:43], s[0:1], s[42:43]
	s_delay_alu instid0(SALU_CYCLE_1) | instskip(NEXT) | instid1(SALU_CYCLE_1)
	s_add_co_i32 s24, s40, s43
	s_lshr_b32 s44, s24, s17
	s_delay_alu instid0(SALU_CYCLE_1)
	s_mul_i32 s24, s33, s44
	s_mul_u64 s[42:43], s[28:29], s[44:45]
	s_add_co_i32 s24, s40, s24
	s_mul_u64 s[42:43], s[42:43], 22
	s_mul_u64 s[44:45], s[14:15], s[24:25]
	s_add_nc_u64 s[42:43], s[8:9], s[42:43]
	s_mul_u64 s[44:45], s[44:45], 22
	s_add_nc_u64 s[40:41], s[40:41], s[18:19]
	s_add_nc_u64 s[42:43], s[42:43], s[44:45]
	v_cmp_ge_i64_e64 s24, s[40:41], s[20:21]
	s_add_nc_u64 s[42:43], s[42:43], s[36:37]
	s_delay_alu instid0(SALU_CYCLE_1) | instskip(SKIP_1) | instid1(VALU_DEP_1)
	v_mad_nc_u64_u32 v[10:11], v0, 22, s[42:43]
	s_and_b32 vcc_lo, exec_lo, s24
	v_mad_u32 v11, v1, 22, v11
	s_delay_alu instid0(VALU_DEP_1)
	v_add_nc_u64_e32 v[12:13], v[10:11], v[2:3]
	s_clause 0x2
	global_load_b32 v9, v[10:11], off
	global_load_u16 v14, v[10:11], off offset:4
	global_load_u8 v15, v[12:13], off offset:6
	s_wait_loadcnt 0x1
	s_wait_xcnt 0x1
	v_perm_b32 v10, v9, v14, 0x1000706
	s_wait_loadcnt 0x0
	s_wait_xcnt 0x0
	v_lshrrev_b16 v12, 4, v15
	s_delay_alu instid0(VALU_DEP_2) | instskip(NEXT) | instid1(VALU_DEP_1)
	v_dual_lshrrev_b32 v11, v2, v10 :: v_dual_lshrrev_b32 v10, v8, v10
	v_dual_lshlrev_b32 v11, 4, v11 :: v_dual_bitop2_b32 v12, -16, v12 bitop3:0x54
	s_delay_alu instid0(VALU_DEP_1) | instskip(NEXT) | instid1(VALU_DEP_2)
	v_bfe_i32 v12, v12, 0, 16
	v_and_b32_e32 v11, 16, v11
	s_delay_alu instid0(VALU_DEP_4) | instskip(NEXT) | instid1(VALU_DEP_1)
	v_and_b32_e32 v10, 16, v10
	v_dual_add_nc_u32 v10, v10, v12 :: v_dual_bitop2_b32 v13, -16, v15 bitop3:0x54
	s_delay_alu instid0(VALU_DEP_1) | instskip(NEXT) | instid1(VALU_DEP_2)
	v_add_nc_u32_e32 v11, v13, v11
	v_cvt_f32_i32_e32 v10, v10
	s_delay_alu instid0(VALU_DEP_2) | instskip(NEXT) | instid1(VALU_DEP_1)
	v_cvt_f32_i32_e32 v11, v11
	v_fma_mixlo_bf16 v11, v9, v11, 0
	s_delay_alu instid0(VALU_DEP_3)
	v_fma_mixlo_bf16 v9, v9, v10, 0
	s_clause 0x1
	global_store_b16 v[6:7], v11, off offset:-32
	global_store_b16 v[6:7], v9, off
	s_wait_xcnt 0x0
	v_add_nc_u64_e32 v[6:7], s[38:39], v[6:7]
	s_cbranch_vccz .LBB50_6
	s_branch .LBB50_3
.LBB50_7:
	s_endpgm
	.section	.rodata,"a",@progbits
	.p2align	6, 0x0
	.amdhsa_kernel _ZL16dequantize_blockILi32ELi2EXadL_ZL15dequantize_q5_0PKvliR15HIP_vector_typeIfLj2EEEE14__hip_bfloat16EvS1_PT2_lllS2_IjLj3EElll
		.amdhsa_group_segment_fixed_size 0
		.amdhsa_private_segment_fixed_size 0
		.amdhsa_kernarg_size 336
		.amdhsa_user_sgpr_count 2
		.amdhsa_user_sgpr_dispatch_ptr 0
		.amdhsa_user_sgpr_queue_ptr 0
		.amdhsa_user_sgpr_kernarg_segment_ptr 1
		.amdhsa_user_sgpr_dispatch_id 0
		.amdhsa_user_sgpr_kernarg_preload_length 0
		.amdhsa_user_sgpr_kernarg_preload_offset 0
		.amdhsa_user_sgpr_private_segment_size 0
		.amdhsa_wavefront_size32 1
		.amdhsa_uses_dynamic_stack 0
		.amdhsa_enable_private_segment 0
		.amdhsa_system_sgpr_workgroup_id_x 1
		.amdhsa_system_sgpr_workgroup_id_y 1
		.amdhsa_system_sgpr_workgroup_id_z 1
		.amdhsa_system_sgpr_workgroup_info 0
		.amdhsa_system_vgpr_workitem_id 0
		.amdhsa_next_free_vgpr 16
		.amdhsa_next_free_sgpr 46
		.amdhsa_named_barrier_count 0
		.amdhsa_reserve_vcc 1
		.amdhsa_float_round_mode_32 0
		.amdhsa_float_round_mode_16_64 0
		.amdhsa_float_denorm_mode_32 3
		.amdhsa_float_denorm_mode_16_64 3
		.amdhsa_fp16_overflow 0
		.amdhsa_memory_ordered 1
		.amdhsa_forward_progress 1
		.amdhsa_inst_pref_size 7
		.amdhsa_round_robin_scheduling 0
		.amdhsa_exception_fp_ieee_invalid_op 0
		.amdhsa_exception_fp_denorm_src 0
		.amdhsa_exception_fp_ieee_div_zero 0
		.amdhsa_exception_fp_ieee_overflow 0
		.amdhsa_exception_fp_ieee_underflow 0
		.amdhsa_exception_fp_ieee_inexact 0
		.amdhsa_exception_int_div_zero 0
	.end_amdhsa_kernel
	.section	.text._ZL16dequantize_blockILi32ELi2EXadL_ZL15dequantize_q5_0PKvliR15HIP_vector_typeIfLj2EEEE14__hip_bfloat16EvS1_PT2_lllS2_IjLj3EElll,"axG",@progbits,_ZL16dequantize_blockILi32ELi2EXadL_ZL15dequantize_q5_0PKvliR15HIP_vector_typeIfLj2EEEE14__hip_bfloat16EvS1_PT2_lllS2_IjLj3EElll,comdat
.Lfunc_end50:
	.size	_ZL16dequantize_blockILi32ELi2EXadL_ZL15dequantize_q5_0PKvliR15HIP_vector_typeIfLj2EEEE14__hip_bfloat16EvS1_PT2_lllS2_IjLj3EElll, .Lfunc_end50-_ZL16dequantize_blockILi32ELi2EXadL_ZL15dequantize_q5_0PKvliR15HIP_vector_typeIfLj2EEEE14__hip_bfloat16EvS1_PT2_lllS2_IjLj3EElll
                                        ; -- End function
	.set _ZL16dequantize_blockILi32ELi2EXadL_ZL15dequantize_q5_0PKvliR15HIP_vector_typeIfLj2EEEE14__hip_bfloat16EvS1_PT2_lllS2_IjLj3EElll.num_vgpr, 16
	.set _ZL16dequantize_blockILi32ELi2EXadL_ZL15dequantize_q5_0PKvliR15HIP_vector_typeIfLj2EEEE14__hip_bfloat16EvS1_PT2_lllS2_IjLj3EElll.num_agpr, 0
	.set _ZL16dequantize_blockILi32ELi2EXadL_ZL15dequantize_q5_0PKvliR15HIP_vector_typeIfLj2EEEE14__hip_bfloat16EvS1_PT2_lllS2_IjLj3EElll.numbered_sgpr, 46
	.set _ZL16dequantize_blockILi32ELi2EXadL_ZL15dequantize_q5_0PKvliR15HIP_vector_typeIfLj2EEEE14__hip_bfloat16EvS1_PT2_lllS2_IjLj3EElll.num_named_barrier, 0
	.set _ZL16dequantize_blockILi32ELi2EXadL_ZL15dequantize_q5_0PKvliR15HIP_vector_typeIfLj2EEEE14__hip_bfloat16EvS1_PT2_lllS2_IjLj3EElll.private_seg_size, 0
	.set _ZL16dequantize_blockILi32ELi2EXadL_ZL15dequantize_q5_0PKvliR15HIP_vector_typeIfLj2EEEE14__hip_bfloat16EvS1_PT2_lllS2_IjLj3EElll.uses_vcc, 1
	.set _ZL16dequantize_blockILi32ELi2EXadL_ZL15dequantize_q5_0PKvliR15HIP_vector_typeIfLj2EEEE14__hip_bfloat16EvS1_PT2_lllS2_IjLj3EElll.uses_flat_scratch, 0
	.set _ZL16dequantize_blockILi32ELi2EXadL_ZL15dequantize_q5_0PKvliR15HIP_vector_typeIfLj2EEEE14__hip_bfloat16EvS1_PT2_lllS2_IjLj3EElll.has_dyn_sized_stack, 0
	.set _ZL16dequantize_blockILi32ELi2EXadL_ZL15dequantize_q5_0PKvliR15HIP_vector_typeIfLj2EEEE14__hip_bfloat16EvS1_PT2_lllS2_IjLj3EElll.has_recursion, 0
	.set _ZL16dequantize_blockILi32ELi2EXadL_ZL15dequantize_q5_0PKvliR15HIP_vector_typeIfLj2EEEE14__hip_bfloat16EvS1_PT2_lllS2_IjLj3EElll.has_indirect_call, 0
	.section	.AMDGPU.csdata,"",@progbits
; Kernel info:
; codeLenInByte = 824
; TotalNumSgprs: 48
; NumVgprs: 16
; ScratchSize: 0
; MemoryBound: 0
; FloatMode: 240
; IeeeMode: 1
; LDSByteSize: 0 bytes/workgroup (compile time only)
; SGPRBlocks: 0
; VGPRBlocks: 0
; NumSGPRsForWavesPerEU: 48
; NumVGPRsForWavesPerEU: 16
; NamedBarCnt: 0
; Occupancy: 16
; WaveLimiterHint : 0
; COMPUTE_PGM_RSRC2:SCRATCH_EN: 0
; COMPUTE_PGM_RSRC2:USER_SGPR: 2
; COMPUTE_PGM_RSRC2:TRAP_HANDLER: 0
; COMPUTE_PGM_RSRC2:TGID_X_EN: 1
; COMPUTE_PGM_RSRC2:TGID_Y_EN: 1
; COMPUTE_PGM_RSRC2:TGID_Z_EN: 1
; COMPUTE_PGM_RSRC2:TIDIG_COMP_CNT: 0
	.section	.text._ZL16dequantize_blockILi32ELi2EXadL_ZL15dequantize_q5_1PKvliR15HIP_vector_typeIfLj2EEEE14__hip_bfloat16EvS1_PT2_lllS2_IjLj3EElll,"axG",@progbits,_ZL16dequantize_blockILi32ELi2EXadL_ZL15dequantize_q5_1PKvliR15HIP_vector_typeIfLj2EEEE14__hip_bfloat16EvS1_PT2_lllS2_IjLj3EElll,comdat
	.globl	_ZL16dequantize_blockILi32ELi2EXadL_ZL15dequantize_q5_1PKvliR15HIP_vector_typeIfLj2EEEE14__hip_bfloat16EvS1_PT2_lllS2_IjLj3EElll ; -- Begin function _ZL16dequantize_blockILi32ELi2EXadL_ZL15dequantize_q5_1PKvliR15HIP_vector_typeIfLj2EEEE14__hip_bfloat16EvS1_PT2_lllS2_IjLj3EElll
	.p2align	8
	.type	_ZL16dequantize_blockILi32ELi2EXadL_ZL15dequantize_q5_1PKvliR15HIP_vector_typeIfLj2EEEE14__hip_bfloat16EvS1_PT2_lllS2_IjLj3EElll,@function
_ZL16dequantize_blockILi32ELi2EXadL_ZL15dequantize_q5_1PKvliR15HIP_vector_typeIfLj2EEEE14__hip_bfloat16EvS1_PT2_lllS2_IjLj3EElll: ; @_ZL16dequantize_blockILi32ELi2EXadL_ZL15dequantize_q5_1PKvliR15HIP_vector_typeIfLj2EEEE14__hip_bfloat16EvS1_PT2_lllS2_IjLj3EElll
; %bb.0:
	s_load_b32 s2, s[0:1], 0x5c
	s_bfe_u32 s3, ttmp6, 0x4000c
	s_and_b32 s4, ttmp6, 15
	s_add_co_i32 s3, s3, 1
	s_getreg_b32 s12, hwreg(HW_REG_IB_STS2, 6, 4)
	s_mul_i32 s3, ttmp9, s3
	v_mov_b32_e32 v1, 0
	s_add_co_i32 s3, s4, s3
	s_load_b128 s[4:7], s[0:1], 0x10
	s_wait_kmcnt 0x0
	s_and_b32 s2, s2, 0xffff
	s_cmp_eq_u32 s12, 0
	s_cselect_b32 s3, ttmp9, s3
	s_delay_alu instid0(SALU_CYCLE_1) | instskip(SKIP_2) | instid1(VALU_DEP_1)
	v_mad_nc_u64_u32 v[2:3], s2, s3, v[0:1]
	s_mov_b32 s3, 0
	s_mov_b32 s2, exec_lo
	v_lshlrev_b64_e32 v[0:1], 1, v[2:3]
	s_delay_alu instid0(VALU_DEP_1)
	v_cmpx_gt_i64_e64 s[4:5], v[0:1]
	s_cbranch_execz .LBB51_7
; %bb.1:
	s_bfe_u32 s2, ttmp6, 0x40010
	s_load_b64 s[20:21], s[0:1], 0x20
	s_and_b32 s8, ttmp7, 0xffff
	s_add_co_i32 s2, s2, 1
	s_bfe_u32 s9, ttmp6, 0x40004
	s_mul_i32 s2, s8, s2
	s_delay_alu instid0(SALU_CYCLE_1) | instskip(SKIP_2) | instid1(SALU_CYCLE_1)
	s_add_co_i32 s9, s9, s2
	s_cmp_eq_u32 s12, 0
	s_cselect_b32 s2, s8, s9
	v_cmp_le_i64_e64 s8, s[6:7], s[2:3]
	s_and_b32 vcc_lo, exec_lo, s8
	s_cbranch_vccnz .LBB51_7
; %bb.2:
	s_bfe_u32 s8, ttmp6, 0x40014
	s_lshr_b32 s13, ttmp7, 16
	s_add_co_i32 s8, s8, 1
	v_lshrrev_b64 v[0:1], 4, v[2:3]
	s_mul_i32 s14, s13, s8
	s_bfe_u32 s15, ttmp6, 0x40008
	s_mov_b32 s25, 0
	s_add_co_i32 s15, s15, s14
	s_cmp_eq_u32 s12, 0
	s_clause 0x1
	s_load_b128 s[8:11], s[0:1], 0x0
	s_load_b96 s[16:18], s[0:1], 0x28
	s_cselect_b32 s24, s13, s15
	v_lshlrev_b64_e32 v[4:5], 6, v[0:1]
	s_mul_u64 s[12:13], s[6:7], s[24:25]
	v_dual_mov_b32 v3, 0 :: v_dual_bitop2_b32 v2, 15, v2 bitop3:0x40
	s_add_nc_u64 s[12:13], s[12:13], s[2:3]
	s_add_nc_u64 s[22:23], s[0:1], 0x50
	s_mul_u64 s[12:13], s[4:5], s[12:13]
	s_delay_alu instid0(VALU_DEP_1)
	v_dual_mov_b32 v7, v3 :: v_dual_lshlrev_b32 v6, 1, v2
	v_lshl_add_u64 v[4:5], s[12:13], 1, v[4:5]
	s_load_b32 s26, s[22:23], 0x4
	s_clause 0x1
	s_load_b128 s[12:15], s[0:1], 0x38
	s_load_b64 s[28:29], s[0:1], 0x48
	s_mov_b32 s27, s25
	v_add_nc_u32_e32 v8, 12, v2
	v_add_nc_u64_e32 v[4:5], v[4:5], v[6:7]
	s_mul_u64 s[34:35], s[6:7], s[4:5]
	s_wait_xcnt 0x0
	s_mov_b32 s1, s25
	s_lshl_b64 s[34:35], s[34:35], 1
	s_wait_kmcnt 0x0
	s_mov_b32 s0, s16
	v_cmp_gt_i64_e64 s16, s[20:21], s[24:25]
	s_sub_co_i32 s33, 0, s18
	v_add_nc_u64_e32 v[4:5], s[10:11], v[4:5]
	s_mov_b64 s[10:11], s[24:25]
	s_delay_alu instid0(VALU_DEP_1)
	v_add_nc_u64_e32 v[4:5], 32, v[4:5]
	s_mul_u64 s[30:31], s[4:5], s[26:27]
	s_mov_b64 s[4:5], 0xffffffff
	s_lshl_b64 s[30:31], s[30:31], 1
	s_branch .LBB51_4
.LBB51_3:                               ;   in Loop: Header=BB51_4 Depth=1
	s_add_nc_u64 s[2:3], s[2:3], s[26:27]
	v_add_nc_u64_e32 v[4:5], s[30:31], v[4:5]
	v_cmp_ge_i64_e64 s18, s[2:3], s[6:7]
	s_and_b32 vcc_lo, exec_lo, s18
	s_cbranch_vccnz .LBB51_7
.LBB51_4:                               ; =>This Loop Header: Depth=1
                                        ;     Child Loop BB51_6 Depth 2
	s_and_not1_b32 vcc_lo, exec_lo, s16
	s_cbranch_vccnz .LBB51_3
; %bb.5:                                ;   in Loop: Header=BB51_4 Depth=1
	s_load_b32 s18, s[22:23], 0x8
	v_mov_b64_e32 v[6:7], v[4:5]
	s_mul_u64 s[36:37], s[2:3], s[12:13]
	s_mov_b32 s19, s25
	s_mul_u64 s[36:37], s[36:37], 24
	s_mov_b64 s[40:41], s[10:11]
	s_wait_kmcnt 0x0
	s_mul_u64 s[38:39], s[34:35], s[18:19]
.LBB51_6:                               ;   Parent Loop BB51_4 Depth=1
                                        ; =>  This Inner Loop Header: Depth=2
	s_and_b64 s[42:43], s[40:41], s[4:5]
	s_mov_b32 s45, s25
	s_mul_u64 s[42:43], s[0:1], s[42:43]
	s_delay_alu instid0(SALU_CYCLE_1) | instskip(NEXT) | instid1(SALU_CYCLE_1)
	s_add_co_i32 s24, s40, s43
	s_lshr_b32 s44, s24, s17
	s_delay_alu instid0(SALU_CYCLE_1)
	s_mul_i32 s24, s33, s44
	s_mul_u64 s[42:43], s[28:29], s[44:45]
	s_add_co_i32 s24, s40, s24
	s_mul_u64 s[42:43], s[42:43], 24
	s_mul_u64 s[44:45], s[14:15], s[24:25]
	s_add_nc_u64 s[42:43], s[8:9], s[42:43]
	s_mul_u64 s[44:45], s[44:45], 24
	s_add_nc_u64 s[40:41], s[40:41], s[18:19]
	s_add_nc_u64 s[42:43], s[42:43], s[44:45]
	v_cmp_ge_i64_e64 s24, s[40:41], s[20:21]
	s_add_nc_u64 s[42:43], s[42:43], s[36:37]
	s_delay_alu instid0(SALU_CYCLE_1) | instskip(SKIP_1) | instid1(VALU_DEP_1)
	v_mad_nc_u64_u32 v[10:11], v0, 24, s[42:43]
	s_and_b32 vcc_lo, exec_lo, s24
	v_mad_u32 v11, v1, 24, v11
	s_delay_alu instid0(VALU_DEP_1)
	v_add_nc_u64_e32 v[12:13], v[10:11], v[2:3]
	s_clause 0x1
	global_load_b64 v[14:15], v[10:11], off
	global_load_u8 v9, v[12:13], off offset:8
	s_wait_loadcnt 0x1
	s_wait_xcnt 0x1
	v_dual_lshrrev_b32 v10, v2, v15 :: v_dual_lshrrev_b32 v11, v8, v15
	s_wait_loadcnt 0x0
	s_wait_xcnt 0x0
	v_and_b32_e32 v12, 15, v9
	v_lshrrev_b16 v9, 4, v9
	v_lshlrev_b32_e32 v10, 4, v10
	s_delay_alu instid0(VALU_DEP_2) | instskip(SKIP_1) | instid1(VALU_DEP_3)
	v_and_or_b32 v9, v11, 16, v9
	v_lshrrev_b32_e32 v11, 16, v14
	v_and_or_b32 v10, v10, 16, v12
	s_delay_alu instid0(VALU_DEP_3) | instskip(NEXT) | instid1(VALU_DEP_2)
	v_cvt_f32_ubyte0_e32 v9, v9
	v_cvt_f32_ubyte0_e32 v10, v10
	s_delay_alu instid0(VALU_DEP_2) | instskip(NEXT) | instid1(VALU_DEP_2)
	v_fma_mixlo_bf16 v9, v14, v9, v11
	v_fma_mixlo_bf16 v10, v14, v10, v11
	s_clause 0x1
	global_store_b16 v[6:7], v10, off offset:-32
	global_store_b16 v[6:7], v9, off
	s_wait_xcnt 0x0
	v_add_nc_u64_e32 v[6:7], s[38:39], v[6:7]
	s_cbranch_vccz .LBB51_6
	s_branch .LBB51_3
.LBB51_7:
	s_endpgm
	.section	.rodata,"a",@progbits
	.p2align	6, 0x0
	.amdhsa_kernel _ZL16dequantize_blockILi32ELi2EXadL_ZL15dequantize_q5_1PKvliR15HIP_vector_typeIfLj2EEEE14__hip_bfloat16EvS1_PT2_lllS2_IjLj3EElll
		.amdhsa_group_segment_fixed_size 0
		.amdhsa_private_segment_fixed_size 0
		.amdhsa_kernarg_size 336
		.amdhsa_user_sgpr_count 2
		.amdhsa_user_sgpr_dispatch_ptr 0
		.amdhsa_user_sgpr_queue_ptr 0
		.amdhsa_user_sgpr_kernarg_segment_ptr 1
		.amdhsa_user_sgpr_dispatch_id 0
		.amdhsa_user_sgpr_kernarg_preload_length 0
		.amdhsa_user_sgpr_kernarg_preload_offset 0
		.amdhsa_user_sgpr_private_segment_size 0
		.amdhsa_wavefront_size32 1
		.amdhsa_uses_dynamic_stack 0
		.amdhsa_enable_private_segment 0
		.amdhsa_system_sgpr_workgroup_id_x 1
		.amdhsa_system_sgpr_workgroup_id_y 1
		.amdhsa_system_sgpr_workgroup_id_z 1
		.amdhsa_system_sgpr_workgroup_info 0
		.amdhsa_system_vgpr_workitem_id 0
		.amdhsa_next_free_vgpr 16
		.amdhsa_next_free_sgpr 46
		.amdhsa_named_barrier_count 0
		.amdhsa_reserve_vcc 1
		.amdhsa_float_round_mode_32 0
		.amdhsa_float_round_mode_16_64 0
		.amdhsa_float_denorm_mode_32 3
		.amdhsa_float_denorm_mode_16_64 3
		.amdhsa_fp16_overflow 0
		.amdhsa_memory_ordered 1
		.amdhsa_forward_progress 1
		.amdhsa_inst_pref_size 7
		.amdhsa_round_robin_scheduling 0
		.amdhsa_exception_fp_ieee_invalid_op 0
		.amdhsa_exception_fp_denorm_src 0
		.amdhsa_exception_fp_ieee_div_zero 0
		.amdhsa_exception_fp_ieee_overflow 0
		.amdhsa_exception_fp_ieee_underflow 0
		.amdhsa_exception_fp_ieee_inexact 0
		.amdhsa_exception_int_div_zero 0
	.end_amdhsa_kernel
	.section	.text._ZL16dequantize_blockILi32ELi2EXadL_ZL15dequantize_q5_1PKvliR15HIP_vector_typeIfLj2EEEE14__hip_bfloat16EvS1_PT2_lllS2_IjLj3EElll,"axG",@progbits,_ZL16dequantize_blockILi32ELi2EXadL_ZL15dequantize_q5_1PKvliR15HIP_vector_typeIfLj2EEEE14__hip_bfloat16EvS1_PT2_lllS2_IjLj3EElll,comdat
.Lfunc_end51:
	.size	_ZL16dequantize_blockILi32ELi2EXadL_ZL15dequantize_q5_1PKvliR15HIP_vector_typeIfLj2EEEE14__hip_bfloat16EvS1_PT2_lllS2_IjLj3EElll, .Lfunc_end51-_ZL16dequantize_blockILi32ELi2EXadL_ZL15dequantize_q5_1PKvliR15HIP_vector_typeIfLj2EEEE14__hip_bfloat16EvS1_PT2_lllS2_IjLj3EElll
                                        ; -- End function
	.set _ZL16dequantize_blockILi32ELi2EXadL_ZL15dequantize_q5_1PKvliR15HIP_vector_typeIfLj2EEEE14__hip_bfloat16EvS1_PT2_lllS2_IjLj3EElll.num_vgpr, 16
	.set _ZL16dequantize_blockILi32ELi2EXadL_ZL15dequantize_q5_1PKvliR15HIP_vector_typeIfLj2EEEE14__hip_bfloat16EvS1_PT2_lllS2_IjLj3EElll.num_agpr, 0
	.set _ZL16dequantize_blockILi32ELi2EXadL_ZL15dequantize_q5_1PKvliR15HIP_vector_typeIfLj2EEEE14__hip_bfloat16EvS1_PT2_lllS2_IjLj3EElll.numbered_sgpr, 46
	.set _ZL16dequantize_blockILi32ELi2EXadL_ZL15dequantize_q5_1PKvliR15HIP_vector_typeIfLj2EEEE14__hip_bfloat16EvS1_PT2_lllS2_IjLj3EElll.num_named_barrier, 0
	.set _ZL16dequantize_blockILi32ELi2EXadL_ZL15dequantize_q5_1PKvliR15HIP_vector_typeIfLj2EEEE14__hip_bfloat16EvS1_PT2_lllS2_IjLj3EElll.private_seg_size, 0
	.set _ZL16dequantize_blockILi32ELi2EXadL_ZL15dequantize_q5_1PKvliR15HIP_vector_typeIfLj2EEEE14__hip_bfloat16EvS1_PT2_lllS2_IjLj3EElll.uses_vcc, 1
	.set _ZL16dequantize_blockILi32ELi2EXadL_ZL15dequantize_q5_1PKvliR15HIP_vector_typeIfLj2EEEE14__hip_bfloat16EvS1_PT2_lllS2_IjLj3EElll.uses_flat_scratch, 0
	.set _ZL16dequantize_blockILi32ELi2EXadL_ZL15dequantize_q5_1PKvliR15HIP_vector_typeIfLj2EEEE14__hip_bfloat16EvS1_PT2_lllS2_IjLj3EElll.has_dyn_sized_stack, 0
	.set _ZL16dequantize_blockILi32ELi2EXadL_ZL15dequantize_q5_1PKvliR15HIP_vector_typeIfLj2EEEE14__hip_bfloat16EvS1_PT2_lllS2_IjLj3EElll.has_recursion, 0
	.set _ZL16dequantize_blockILi32ELi2EXadL_ZL15dequantize_q5_1PKvliR15HIP_vector_typeIfLj2EEEE14__hip_bfloat16EvS1_PT2_lllS2_IjLj3EElll.has_indirect_call, 0
	.section	.AMDGPU.csdata,"",@progbits
; Kernel info:
; codeLenInByte = 772
; TotalNumSgprs: 48
; NumVgprs: 16
; ScratchSize: 0
; MemoryBound: 0
; FloatMode: 240
; IeeeMode: 1
; LDSByteSize: 0 bytes/workgroup (compile time only)
; SGPRBlocks: 0
; VGPRBlocks: 0
; NumSGPRsForWavesPerEU: 48
; NumVGPRsForWavesPerEU: 16
; NamedBarCnt: 0
; Occupancy: 16
; WaveLimiterHint : 0
; COMPUTE_PGM_RSRC2:SCRATCH_EN: 0
; COMPUTE_PGM_RSRC2:USER_SGPR: 2
; COMPUTE_PGM_RSRC2:TRAP_HANDLER: 0
; COMPUTE_PGM_RSRC2:TGID_X_EN: 1
; COMPUTE_PGM_RSRC2:TGID_Y_EN: 1
; COMPUTE_PGM_RSRC2:TGID_Z_EN: 1
; COMPUTE_PGM_RSRC2:TIDIG_COMP_CNT: 0
	.section	.text._ZL16dequantize_blockILi32ELi1EXadL_ZL15dequantize_q8_0PKvliR15HIP_vector_typeIfLj2EEEE14__hip_bfloat16EvS1_PT2_lllS2_IjLj3EElll,"axG",@progbits,_ZL16dequantize_blockILi32ELi1EXadL_ZL15dequantize_q8_0PKvliR15HIP_vector_typeIfLj2EEEE14__hip_bfloat16EvS1_PT2_lllS2_IjLj3EElll,comdat
	.globl	_ZL16dequantize_blockILi32ELi1EXadL_ZL15dequantize_q8_0PKvliR15HIP_vector_typeIfLj2EEEE14__hip_bfloat16EvS1_PT2_lllS2_IjLj3EElll ; -- Begin function _ZL16dequantize_blockILi32ELi1EXadL_ZL15dequantize_q8_0PKvliR15HIP_vector_typeIfLj2EEEE14__hip_bfloat16EvS1_PT2_lllS2_IjLj3EElll
	.p2align	8
	.type	_ZL16dequantize_blockILi32ELi1EXadL_ZL15dequantize_q8_0PKvliR15HIP_vector_typeIfLj2EEEE14__hip_bfloat16EvS1_PT2_lllS2_IjLj3EElll,@function
_ZL16dequantize_blockILi32ELi1EXadL_ZL15dequantize_q8_0PKvliR15HIP_vector_typeIfLj2EEEE14__hip_bfloat16EvS1_PT2_lllS2_IjLj3EElll: ; @_ZL16dequantize_blockILi32ELi1EXadL_ZL15dequantize_q8_0PKvliR15HIP_vector_typeIfLj2EEEE14__hip_bfloat16EvS1_PT2_lllS2_IjLj3EElll
; %bb.0:
	s_clause 0x1
	s_load_b32 s12, s[0:1], 0x5c
	s_load_b128 s[4:7], s[0:1], 0x10
	s_bfe_u32 s2, ttmp6, 0x4000c
	s_and_b32 s3, ttmp6, 15
	s_add_co_i32 s2, s2, 1
	s_getreg_b32 s14, hwreg(HW_REG_IB_STS2, 6, 4)
	s_mul_i32 s2, ttmp9, s2
	v_mov_b32_e32 v1, 0
	s_add_co_i32 s3, s3, s2
	s_cmp_eq_u32 s14, 0
	s_cselect_b32 s13, ttmp9, s3
	s_mov_b32 s3, 0
	s_wait_kmcnt 0x0
	s_and_b32 s2, s12, 0xffff
	s_delay_alu instid0(SALU_CYCLE_1) | instskip(SKIP_1) | instid1(VALU_DEP_1)
	v_mad_nc_u64_u32 v[2:3], s2, s13, v[0:1]
	s_mov_b32 s2, exec_lo
	v_lshlrev_b64_e32 v[4:5], 1, v[2:3]
	s_delay_alu instid0(VALU_DEP_1)
	v_cmpx_gt_i64_e64 s[4:5], v[4:5]
	s_cbranch_execz .LBB52_7
; %bb.1:
	s_bfe_u32 s2, ttmp6, 0x40010
	s_load_b64 s[20:21], s[0:1], 0x20
	s_and_b32 s8, ttmp7, 0xffff
	s_add_co_i32 s2, s2, 1
	s_bfe_u32 s9, ttmp6, 0x40004
	s_mul_i32 s2, s8, s2
	s_delay_alu instid0(SALU_CYCLE_1) | instskip(SKIP_2) | instid1(SALU_CYCLE_1)
	s_add_co_i32 s9, s9, s2
	s_cmp_eq_u32 s14, 0
	s_cselect_b32 s2, s8, s9
	v_cmp_le_i64_e64 s8, s[6:7], s[2:3]
	s_and_b32 vcc_lo, exec_lo, s8
	s_cbranch_vccnz .LBB52_7
; %bb.2:
	s_bfe_u32 s15, ttmp6, 0x40014
	s_lshr_b32 s19, ttmp7, 16
	s_add_co_i32 s15, s15, 1
	v_lshrrev_b64 v[2:3], 4, v[2:3]
	s_mul_i32 s15, s19, s15
	s_bfe_u32 s24, ttmp6, 0x40008
	s_mul_i32 s13, s13, s12
	s_add_co_i32 s24, s24, s15
	s_cmp_eq_u32 s14, 0
	v_add_nc_u16 v0, s13, v0
	s_mov_b32 s25, 0
	s_cselect_b32 s24, s19, s24
	s_clause 0x1
	s_load_b128 s[8:11], s[0:1], 0x0
	s_load_b96 s[16:18], s[0:1], 0x28
	v_lshlrev_b64_e32 v[6:7], 6, v[2:3]
	s_add_nc_u64 s[22:23], s[0:1], 0x50
	s_mul_u64 s[12:13], s[6:7], s[24:25]
	s_load_b32 s26, s[22:23], 0x4
	s_add_nc_u64 s[12:13], s[12:13], s[2:3]
	v_dual_mov_b32 v1, 0 :: v_dual_bitop2_b32 v0, 15, v0 bitop3:0x40
	s_mul_u64 s[12:13], s[4:5], s[12:13]
	s_mov_b32 s27, s25
	v_lshl_add_u64 v[6:7], s[12:13], 1, v[6:7]
	s_clause 0x1
	s_load_b128 s[12:15], s[0:1], 0x38
	s_load_b64 s[28:29], s[0:1], 0x48
	v_dual_mov_b32 v9, v1 :: v_dual_lshlrev_b32 v8, 2, v0
	v_and_b32_e32 v0, 30, v4
	s_mul_u64 s[34:35], s[6:7], s[4:5]
	s_wait_xcnt 0x0
	s_mov_b64 s[0:1], s[24:25]
	s_mov_b32 s31, s25
	v_add_nc_u64_e32 v[6:7], v[6:7], v[8:9]
	s_lshl_b64 s[34:35], s[34:35], 1
	s_wait_kmcnt 0x0
	s_mov_b32 s30, s16
	v_cmp_gt_i64_e64 s16, s[20:21], s[24:25]
	s_sub_co_i32 s33, 0, s18
	v_add_nc_u64_e32 v[4:5], s[10:11], v[6:7]
	s_mul_u64 s[10:11], s[4:5], s[26:27]
	s_mov_b64 s[4:5], 0xffffffff
	s_lshl_b64 s[10:11], s[10:11], 1
	s_branch .LBB52_4
.LBB52_3:                               ;   in Loop: Header=BB52_4 Depth=1
	s_add_nc_u64 s[2:3], s[2:3], s[26:27]
	v_add_nc_u64_e32 v[4:5], s[10:11], v[4:5]
	v_cmp_ge_i64_e64 s18, s[2:3], s[6:7]
	s_and_b32 vcc_lo, exec_lo, s18
	s_cbranch_vccnz .LBB52_7
.LBB52_4:                               ; =>This Loop Header: Depth=1
                                        ;     Child Loop BB52_6 Depth 2
	s_and_not1_b32 vcc_lo, exec_lo, s16
	s_cbranch_vccnz .LBB52_3
; %bb.5:                                ;   in Loop: Header=BB52_4 Depth=1
	s_load_b32 s18, s[22:23], 0x8
	v_mov_b64_e32 v[6:7], v[4:5]
	s_mul_u64 s[36:37], s[2:3], s[12:13]
	s_mov_b32 s19, s25
	s_mul_u64 s[36:37], s[36:37], 34
	s_mov_b64 s[40:41], s[0:1]
	s_wait_kmcnt 0x0
	s_mul_u64 s[38:39], s[34:35], s[18:19]
.LBB52_6:                               ;   Parent Loop BB52_4 Depth=1
                                        ; =>  This Inner Loop Header: Depth=2
	s_and_b64 s[42:43], s[40:41], s[4:5]
	s_mov_b32 s45, s25
	s_mul_u64 s[42:43], s[30:31], s[42:43]
	s_delay_alu instid0(SALU_CYCLE_1) | instskip(NEXT) | instid1(SALU_CYCLE_1)
	s_add_co_i32 s24, s40, s43
	s_lshr_b32 s44, s24, s17
	s_delay_alu instid0(SALU_CYCLE_1)
	s_mul_i32 s24, s33, s44
	s_mul_u64 s[42:43], s[28:29], s[44:45]
	s_add_co_i32 s24, s40, s24
	s_mul_u64 s[42:43], s[42:43], 34
	s_mul_u64 s[44:45], s[14:15], s[24:25]
	s_add_nc_u64 s[42:43], s[8:9], s[42:43]
	s_mul_u64 s[44:45], s[44:45], 34
	s_add_nc_u64 s[40:41], s[40:41], s[18:19]
	s_add_nc_u64 s[42:43], s[42:43], s[44:45]
	v_cmp_ge_i64_e64 s24, s[40:41], s[20:21]
	s_add_nc_u64 s[42:43], s[42:43], s[36:37]
	s_delay_alu instid0(SALU_CYCLE_1) | instskip(SKIP_1) | instid1(VALU_DEP_1)
	v_mad_nc_u64_u32 v[8:9], v2, 34, s[42:43]
	s_and_b32 vcc_lo, exec_lo, s24
	v_mad_u32 v9, v3, 34, v9
	s_delay_alu instid0(VALU_DEP_1)
	v_add_nc_u64_e32 v[10:11], v[8:9], v[0:1]
	s_clause 0x1
	global_load_u16 v12, v[8:9], off
	global_load_u16 v13, v[10:11], off offset:2
	s_wait_loadcnt 0x0
	s_wait_xcnt 0x1
	v_ashrrev_i16 v8, 8, v13
	v_bfe_i32 v9, v13, 0, 8
	s_wait_xcnt 0x0
	s_delay_alu instid0(VALU_DEP_2) | instskip(NEXT) | instid1(VALU_DEP_2)
	v_bfe_i32 v10, v8, 0, 16
	v_bfe_i32 v9, v9, 0, 16
	v_cvt_f32_f16_e32 v8, v12
	s_delay_alu instid0(VALU_DEP_3) | instskip(NEXT) | instid1(VALU_DEP_3)
	v_cvt_f32_i32_e32 v11, v10
	v_cvt_f32_i32_e32 v10, v9
	s_delay_alu instid0(VALU_DEP_1) | instskip(NEXT) | instid1(VALU_DEP_1)
	v_pk_mul_f32 v[8:9], v[8:9], v[10:11] op_sel_hi:[0,1]
	v_cvt_pk_bf16_f32 v8, v8, v9
	global_store_b32 v[6:7], v8, off
	s_wait_xcnt 0x0
	v_add_nc_u64_e32 v[6:7], s[38:39], v[6:7]
	s_cbranch_vccz .LBB52_6
	s_branch .LBB52_3
.LBB52_7:
	s_endpgm
	.section	.rodata,"a",@progbits
	.p2align	6, 0x0
	.amdhsa_kernel _ZL16dequantize_blockILi32ELi1EXadL_ZL15dequantize_q8_0PKvliR15HIP_vector_typeIfLj2EEEE14__hip_bfloat16EvS1_PT2_lllS2_IjLj3EElll
		.amdhsa_group_segment_fixed_size 0
		.amdhsa_private_segment_fixed_size 0
		.amdhsa_kernarg_size 336
		.amdhsa_user_sgpr_count 2
		.amdhsa_user_sgpr_dispatch_ptr 0
		.amdhsa_user_sgpr_queue_ptr 0
		.amdhsa_user_sgpr_kernarg_segment_ptr 1
		.amdhsa_user_sgpr_dispatch_id 0
		.amdhsa_user_sgpr_kernarg_preload_length 0
		.amdhsa_user_sgpr_kernarg_preload_offset 0
		.amdhsa_user_sgpr_private_segment_size 0
		.amdhsa_wavefront_size32 1
		.amdhsa_uses_dynamic_stack 0
		.amdhsa_enable_private_segment 0
		.amdhsa_system_sgpr_workgroup_id_x 1
		.amdhsa_system_sgpr_workgroup_id_y 1
		.amdhsa_system_sgpr_workgroup_id_z 1
		.amdhsa_system_sgpr_workgroup_info 0
		.amdhsa_system_vgpr_workitem_id 0
		.amdhsa_next_free_vgpr 14
		.amdhsa_next_free_sgpr 46
		.amdhsa_named_barrier_count 0
		.amdhsa_reserve_vcc 1
		.amdhsa_float_round_mode_32 0
		.amdhsa_float_round_mode_16_64 0
		.amdhsa_float_denorm_mode_32 3
		.amdhsa_float_denorm_mode_16_64 3
		.amdhsa_fp16_overflow 0
		.amdhsa_memory_ordered 1
		.amdhsa_forward_progress 1
		.amdhsa_inst_pref_size 6
		.amdhsa_round_robin_scheduling 0
		.amdhsa_exception_fp_ieee_invalid_op 0
		.amdhsa_exception_fp_denorm_src 0
		.amdhsa_exception_fp_ieee_div_zero 0
		.amdhsa_exception_fp_ieee_overflow 0
		.amdhsa_exception_fp_ieee_underflow 0
		.amdhsa_exception_fp_ieee_inexact 0
		.amdhsa_exception_int_div_zero 0
	.end_amdhsa_kernel
	.section	.text._ZL16dequantize_blockILi32ELi1EXadL_ZL15dequantize_q8_0PKvliR15HIP_vector_typeIfLj2EEEE14__hip_bfloat16EvS1_PT2_lllS2_IjLj3EElll,"axG",@progbits,_ZL16dequantize_blockILi32ELi1EXadL_ZL15dequantize_q8_0PKvliR15HIP_vector_typeIfLj2EEEE14__hip_bfloat16EvS1_PT2_lllS2_IjLj3EElll,comdat
.Lfunc_end52:
	.size	_ZL16dequantize_blockILi32ELi1EXadL_ZL15dequantize_q8_0PKvliR15HIP_vector_typeIfLj2EEEE14__hip_bfloat16EvS1_PT2_lllS2_IjLj3EElll, .Lfunc_end52-_ZL16dequantize_blockILi32ELi1EXadL_ZL15dequantize_q8_0PKvliR15HIP_vector_typeIfLj2EEEE14__hip_bfloat16EvS1_PT2_lllS2_IjLj3EElll
                                        ; -- End function
	.set _ZL16dequantize_blockILi32ELi1EXadL_ZL15dequantize_q8_0PKvliR15HIP_vector_typeIfLj2EEEE14__hip_bfloat16EvS1_PT2_lllS2_IjLj3EElll.num_vgpr, 14
	.set _ZL16dequantize_blockILi32ELi1EXadL_ZL15dequantize_q8_0PKvliR15HIP_vector_typeIfLj2EEEE14__hip_bfloat16EvS1_PT2_lllS2_IjLj3EElll.num_agpr, 0
	.set _ZL16dequantize_blockILi32ELi1EXadL_ZL15dequantize_q8_0PKvliR15HIP_vector_typeIfLj2EEEE14__hip_bfloat16EvS1_PT2_lllS2_IjLj3EElll.numbered_sgpr, 46
	.set _ZL16dequantize_blockILi32ELi1EXadL_ZL15dequantize_q8_0PKvliR15HIP_vector_typeIfLj2EEEE14__hip_bfloat16EvS1_PT2_lllS2_IjLj3EElll.num_named_barrier, 0
	.set _ZL16dequantize_blockILi32ELi1EXadL_ZL15dequantize_q8_0PKvliR15HIP_vector_typeIfLj2EEEE14__hip_bfloat16EvS1_PT2_lllS2_IjLj3EElll.private_seg_size, 0
	.set _ZL16dequantize_blockILi32ELi1EXadL_ZL15dequantize_q8_0PKvliR15HIP_vector_typeIfLj2EEEE14__hip_bfloat16EvS1_PT2_lllS2_IjLj3EElll.uses_vcc, 1
	.set _ZL16dequantize_blockILi32ELi1EXadL_ZL15dequantize_q8_0PKvliR15HIP_vector_typeIfLj2EEEE14__hip_bfloat16EvS1_PT2_lllS2_IjLj3EElll.uses_flat_scratch, 0
	.set _ZL16dequantize_blockILi32ELi1EXadL_ZL15dequantize_q8_0PKvliR15HIP_vector_typeIfLj2EEEE14__hip_bfloat16EvS1_PT2_lllS2_IjLj3EElll.has_dyn_sized_stack, 0
	.set _ZL16dequantize_blockILi32ELi1EXadL_ZL15dequantize_q8_0PKvliR15HIP_vector_typeIfLj2EEEE14__hip_bfloat16EvS1_PT2_lllS2_IjLj3EElll.has_recursion, 0
	.set _ZL16dequantize_blockILi32ELi1EXadL_ZL15dequantize_q8_0PKvliR15HIP_vector_typeIfLj2EEEE14__hip_bfloat16EvS1_PT2_lllS2_IjLj3EElll.has_indirect_call, 0
	.section	.AMDGPU.csdata,"",@progbits
; Kernel info:
; codeLenInByte = 744
; TotalNumSgprs: 48
; NumVgprs: 14
; ScratchSize: 0
; MemoryBound: 0
; FloatMode: 240
; IeeeMode: 1
; LDSByteSize: 0 bytes/workgroup (compile time only)
; SGPRBlocks: 0
; VGPRBlocks: 0
; NumSGPRsForWavesPerEU: 48
; NumVGPRsForWavesPerEU: 14
; NamedBarCnt: 0
; Occupancy: 16
; WaveLimiterHint : 0
; COMPUTE_PGM_RSRC2:SCRATCH_EN: 0
; COMPUTE_PGM_RSRC2:USER_SGPR: 2
; COMPUTE_PGM_RSRC2:TRAP_HANDLER: 0
; COMPUTE_PGM_RSRC2:TGID_X_EN: 1
; COMPUTE_PGM_RSRC2:TGID_Y_EN: 1
; COMPUTE_PGM_RSRC2:TGID_Z_EN: 1
; COMPUTE_PGM_RSRC2:TIDIG_COMP_CNT: 0
	.section	.text._ZL13convert_unaryI6__half14__hip_bfloat16EvPKvPT0_lll15HIP_vector_typeIjLj3EElll,"axG",@progbits,_ZL13convert_unaryI6__half14__hip_bfloat16EvPKvPT0_lll15HIP_vector_typeIjLj3EElll,comdat
	.globl	_ZL13convert_unaryI6__half14__hip_bfloat16EvPKvPT0_lll15HIP_vector_typeIjLj3EElll ; -- Begin function _ZL13convert_unaryI6__half14__hip_bfloat16EvPKvPT0_lll15HIP_vector_typeIjLj3EElll
	.p2align	8
	.type	_ZL13convert_unaryI6__half14__hip_bfloat16EvPKvPT0_lll15HIP_vector_typeIjLj3EElll,@function
_ZL13convert_unaryI6__half14__hip_bfloat16EvPKvPT0_lll15HIP_vector_typeIjLj3EElll: ; @_ZL13convert_unaryI6__half14__hip_bfloat16EvPKvPT0_lll15HIP_vector_typeIjLj3EElll
; %bb.0:
	s_clause 0x1
	s_load_b32 s2, s[0:1], 0x5c
	s_load_b128 s[88:91], s[0:1], 0x10
	s_bfe_u32 s3, ttmp6, 0x4000c
	s_and_b32 s5, ttmp6, 15
	s_add_co_i32 s3, s3, 1
	s_getreg_b32 s4, hwreg(HW_REG_IB_STS2, 6, 4)
	s_mul_i32 s3, ttmp9, s3
	v_mov_b32_e32 v1, 0
	s_add_co_i32 s5, s5, s3
	s_wait_kmcnt 0x0
	s_and_b32 s2, s2, 0xffff
	s_cmp_eq_u32 s4, 0
	s_cselect_b32 s3, ttmp9, s5
	s_delay_alu instid0(SALU_CYCLE_1) | instskip(SKIP_2) | instid1(VALU_DEP_1)
	v_mad_nc_u64_u32 v[0:1], s2, s3, v[0:1]
	s_mov_b32 s3, 0
	s_mov_b32 s2, exec_lo
	v_cmpx_gt_i64_e64 s[88:89], v[0:1]
	s_cbranch_execz .LBB53_17
; %bb.1:
	s_bfe_u32 s2, ttmp6, 0x40010
	s_load_b64 s[20:21], s[0:1], 0x20
	s_and_b32 s5, ttmp7, 0xffff
	s_add_co_i32 s2, s2, 1
	s_bfe_u32 s6, ttmp6, 0x40004
	s_mul_i32 s2, s5, s2
	s_delay_alu instid0(SALU_CYCLE_1) | instskip(SKIP_2) | instid1(SALU_CYCLE_1)
	s_add_co_i32 s6, s6, s2
	s_cmp_eq_u32 s4, 0
	s_cselect_b32 s2, s5, s6
	v_cmp_le_i64_e64 s5, s[90:91], s[2:3]
	s_and_b32 vcc_lo, exec_lo, s5
	s_cbranch_vccnz .LBB53_17
; %bb.2:
	s_clause 0x3
	s_load_b128 s[8:11], s[0:1], 0x0
	s_load_b96 s[92:94], s[0:1], 0x28
	s_load_b128 s[16:19], s[0:1], 0x38
	s_load_b64 s[24:25], s[0:1], 0x48
                                        ; implicit-def: $vgpr19 : SGPR spill to VGPR lane
	s_add_nc_u64 s[78:79], s[0:1], 0x50
	s_wait_xcnt 0x0
	s_bfe_u32 s1, ttmp6, 0x40014
	s_lshr_b32 s0, ttmp7, 16
	s_add_co_i32 s1, s1, 1
	s_bfe_u32 s5, ttmp6, 0x40008
	s_mul_i32 s1, s0, s1
	s_mov_b32 s83, 0
	s_add_co_i32 s5, s5, s1
	s_cmp_eq_u32 s4, 0
	s_mov_b32 s1, s83
	s_cselect_b32 s86, s0, s5
	s_mov_b32 s0, s83
	s_mul_u64 s[4:5], s[90:91], s[88:89]
	s_mov_b32 s54, s90
	s_mov_b32 s55, s91
	;; [unrolled: 1-line block ×5, first 2 shown]
	s_wait_kmcnt 0x0
	s_mov_b32 s12, s18
	s_mov_b32 s13, s19
	;; [unrolled: 1-line block ×7, first 2 shown]
	v_writelane_b32 v19, s16, 0
	s_mov_b32 s59, s91
	s_mov_b32 s60, s90
	;; [unrolled: 1-line block ×4, first 2 shown]
	v_writelane_b32 v19, s17, 1
	s_mov_b32 s63, s89
	s_mov_b32 s64, s88
	s_mov_b32 s65, s89
	s_mov_b32 s66, s88
	v_writelane_b32 v19, s18, 2
	s_mov_b32 s67, s89
	s_mov_b32 s68, s88
	;; [unrolled: 1-line block ×3, first 2 shown]
	v_lshl_add_u64 v[2:3], v[0:1], 1, s[10:11]
	v_writelane_b32 v19, s19, 3
	s_mov_b32 s96, s92
	s_mov_b32 s34, s92
	s_mov_b32 s36, s92
	s_mov_b32 s38, s92
	v_writelane_b32 v19, s0, 4
	s_mov_b32 s0, s86
	s_mov_b32 s46, s92
	s_mov_b32 s33, s93
	s_mov_b32 s72, s93
	;; [unrolled: 5-line block ×4, first 2 shown]
	v_writelane_b32 v19, s0, 7
	s_sub_co_i32 s85, 0, s94
                                        ; implicit-def: $vgpr18 : SGPR spill to VGPR lane
	s_mov_b32 s35, s83
	v_writelane_b32 v18, s6, 0
	s_load_b32 s70, s[78:79], 0x4
	v_writelane_b32 v19, s1, 8
	s_mov_b32 s0, s86
	s_mov_b32 s1, s83
	v_writelane_b32 v18, s10, 1
	s_mov_b32 s87, s83
	v_writelane_b32 v19, s0, 9
	s_mov_b32 s37, s83
	s_mov_b32 s11, s86
	v_writelane_b32 v18, s34, 2
	v_cmp_gt_i64_e64 s14, s[20:21], s[86:87]
	v_writelane_b32 v19, s1, 10
	s_lshl_b64 s[0:1], s[88:89], 1
	s_mov_b32 s97, s83
	v_writelane_b32 v18, s35, 3
	s_mov_b32 s39, s83
	v_writelane_b32 v19, s0, 11
	s_mov_b32 s71, s83
	s_mov_b32 s47, s83
	v_writelane_b32 v18, s36, 4
	v_lshlrev_b64_e32 v[4:5], 1, v[0:1]
	v_writelane_b32 v19, s1, 12
	s_lshl_b64 s[0:1], s[4:5], 1
	s_mov_b32 s40, s24
	v_writelane_b32 v18, s37, 5
	s_mov_b32 s41, s25
	v_writelane_b32 v19, s0, 13
	s_mov_b32 s42, s24
	s_mov_b32 s43, s25
	v_writelane_b32 v18, s38, 6
	s_mov_b32 s44, s24
	v_writelane_b32 v19, s1, 14
	s_mov_b32 s45, s25
	s_mov_b32 s53, s19
	v_writelane_b32 v18, s39, 7
	s_mov_b64 s[76:77], 0xffffffff
	v_writelane_b32 v19, s88, 15
	v_writelane_b32 v18, s46, 8
	;; [unrolled: 1-line block ×11, first 2 shown]
	s_wait_xcnt 0x0
	v_writelane_b32 v19, s78, 22
	v_writelane_b32 v19, s79, 23
	;; [unrolled: 1-line block ×6, first 2 shown]
	s_wait_kmcnt 0x0
	v_writelane_b32 v19, s70, 28
	v_writelane_b32 v19, s71, 29
	;; [unrolled: 1-line block ×4, first 2 shown]
	s_branch .LBB53_4
.LBB53_3:                               ;   in Loop: Header=BB53_4 Depth=1
	s_add_nc_u64 s[2:3], s[2:3], s[70:71]
	s_delay_alu instid0(SALU_CYCLE_1)
	v_cmp_ge_i64_e64 s0, s[2:3], s[90:91]
	s_and_b32 vcc_lo, exec_lo, s0
	s_cbranch_vccnz .LBB53_17
.LBB53_4:                               ; =>This Loop Header: Depth=1
                                        ;     Child Loop BB53_12 Depth 2
                                        ;     Child Loop BB53_16 Depth 2
	s_and_not1_b32 vcc_lo, exec_lo, s14
	s_cbranch_vccnz .LBB53_3
; %bb.5:                                ;   in Loop: Header=BB53_4 Depth=1
	s_load_b32 s18, s[78:79], 0x8
	s_mov_b32 s19, s83
	s_mov_b32 s28, s14
	;; [unrolled: 1-line block ×3, first 2 shown]
	s_wait_kmcnt 0x0
	s_add_nc_u64 s[4:5], s[86:87], s[18:19]
	s_delay_alu instid0(SALU_CYCLE_1) | instskip(SKIP_1) | instid1(VALU_DEP_1)
	v_max_i64 v[6:7], s[20:21], s[4:5]
	v_cmp_lt_i64_e64 s30, s[4:5], s[20:21]
	v_cndmask_b32_e64 v8, 0, 1, s30
	s_delay_alu instid0(VALU_DEP_1) | instskip(NEXT) | instid1(VALU_DEP_4)
	v_readfirstlane_b32 s82, v8
	v_readfirstlane_b32 s22, v6
	;; [unrolled: 1-line block ×3, first 2 shown]
	s_sub_nc_u64 s[22:23], s[22:23], s[82:83]
	s_delay_alu instid0(SALU_CYCLE_1) | instskip(NEXT) | instid1(SALU_CYCLE_1)
	s_sub_nc_u64 s[22:23], s[22:23], s[4:5]
	s_and_b64 s[4:5], s[22:23], 0xffffffff00000000
	s_delay_alu instid0(SALU_CYCLE_1)
	s_cmp_lg_u64 s[4:5], 0
	s_cbranch_scc0 .LBB53_7
; %bb.6:                                ;   in Loop: Header=BB53_4 Depth=1
	s_cvt_f32_u32 s0, s18
	s_mov_b32 s1, 0x4f800000
	s_sub_nc_u64 s[70:71], 0, s[18:19]
	s_delay_alu instid0(SALU_CYCLE_1) | instskip(NEXT) | instid1(SALU_CYCLE_3)
	s_fmamk_f32 s0, s1, 0x0, s0
	v_s_rcp_f32 s0, s0
	s_delay_alu instid0(TRANS32_DEP_1) | instskip(NEXT) | instid1(SALU_CYCLE_3)
	s_mul_f32 s0, s0, 0x5f7ffffc
	s_mul_f32 s1, s0, 0x2f800000
	s_delay_alu instid0(SALU_CYCLE_3) | instskip(NEXT) | instid1(SALU_CYCLE_3)
	s_trunc_f32 s1, s1
	s_fmamk_f32 s0, s1, 0xcf800000, s0
	s_cvt_u32_f32 s5, s1
	s_delay_alu instid0(SALU_CYCLE_2) | instskip(NEXT) | instid1(SALU_CYCLE_3)
	s_cvt_u32_f32 s4, s0
	s_mul_u64 s[72:73], s[70:71], s[4:5]
	s_delay_alu instid0(SALU_CYCLE_1)
	s_mul_hi_u32 s75, s4, s73
	s_mul_i32 s74, s4, s73
	s_mul_hi_u32 s82, s4, s72
	s_mul_i32 s1, s5, s72
	s_add_nc_u64 s[74:75], s[82:83], s[74:75]
	s_mul_hi_u32 s0, s5, s72
	s_mul_hi_u32 s16, s5, s73
	s_add_co_u32 s1, s74, s1
	s_add_co_ci_u32 s82, s75, s0
	s_mul_i32 s72, s5, s73
	s_add_co_ci_u32 s73, s16, 0
	s_delay_alu instid0(SALU_CYCLE_1) | instskip(NEXT) | instid1(SALU_CYCLE_1)
	s_add_nc_u64 s[72:73], s[82:83], s[72:73]
	s_add_co_u32 s4, s4, s72
	s_cselect_b32 s0, -1, 0
	s_delay_alu instid0(SALU_CYCLE_1) | instskip(SKIP_1) | instid1(SALU_CYCLE_1)
	s_cmp_lg_u32 s0, 0
	s_add_co_ci_u32 s5, s5, s73
	s_mul_u64 s[70:71], s[70:71], s[4:5]
	s_delay_alu instid0(SALU_CYCLE_1)
	s_mul_hi_u32 s73, s4, s71
	s_mul_i32 s72, s4, s71
	s_mul_hi_u32 s82, s4, s70
	s_mul_i32 s1, s5, s70
	s_add_nc_u64 s[72:73], s[82:83], s[72:73]
	s_mul_hi_u32 s0, s5, s70
	s_mul_hi_u32 s16, s5, s71
	s_add_co_u32 s1, s72, s1
	s_add_co_ci_u32 s82, s73, s0
	s_mul_i32 s70, s5, s71
	s_add_co_ci_u32 s71, s16, 0
	s_delay_alu instid0(SALU_CYCLE_1) | instskip(NEXT) | instid1(SALU_CYCLE_1)
	s_add_nc_u64 s[70:71], s[82:83], s[70:71]
	s_add_co_u32 s0, s4, s70
	s_cselect_b32 s1, -1, 0
	s_mul_hi_u32 s82, s22, s0
	s_cmp_lg_u32 s1, 0
	s_mul_hi_u32 s1, s23, s0
	s_add_co_ci_u32 s16, s5, s71
	s_mul_i32 s0, s23, s0
	s_mul_hi_u32 s5, s22, s16
	s_mul_i32 s4, s22, s16
	s_mul_hi_u32 s17, s23, s16
	s_add_nc_u64 s[4:5], s[82:83], s[4:5]
	s_mul_i32 s70, s23, s16
	s_add_co_u32 s0, s4, s0
	s_add_co_ci_u32 s82, s5, s1
	s_add_co_ci_u32 s71, s17, 0
	s_delay_alu instid0(SALU_CYCLE_1) | instskip(NEXT) | instid1(SALU_CYCLE_1)
	s_add_nc_u64 s[4:5], s[82:83], s[70:71]
	s_and_b64 s[70:71], s[4:5], 0xffffffff00000000
	s_delay_alu instid0(SALU_CYCLE_1) | instskip(NEXT) | instid1(SALU_CYCLE_1)
	s_or_b32 s70, s70, s4
	s_mul_u64 s[4:5], s[18:19], s[70:71]
	s_add_nc_u64 s[72:73], s[70:71], 2
	s_sub_co_u32 s0, s22, s4
	s_cselect_b32 s1, -1, 0
	s_delay_alu instid0(SALU_CYCLE_1) | instskip(SKIP_3) | instid1(SALU_CYCLE_1)
	s_cmp_lg_u32 s1, 0
	s_sub_co_ci_u32 s1, s23, s5
	s_sub_co_u32 s4, s0, s18
	s_cselect_b32 s5, -1, 0
	s_cmp_lg_u32 s5, 0
	s_sub_co_ci_u32 s5, s1, 0
	s_cmp_ge_u32 s4, s18
	s_cselect_b32 s16, -1, 0
	s_cmp_eq_u32 s5, 0
	s_add_nc_u64 s[4:5], s[70:71], 1
	s_cselect_b32 s16, s16, -1
	s_delay_alu instid0(SALU_CYCLE_1)
	s_cmp_lg_u32 s16, 0
	s_cselect_b32 s4, s72, s4
	s_cselect_b32 s5, s73, s5
	s_cmp_ge_u32 s0, s18
	s_cselect_b32 s0, -1, 0
	s_cmp_eq_u32 s1, 0
	s_cselect_b32 s0, s0, -1
	s_delay_alu instid0(SALU_CYCLE_1)
	s_cmp_lg_u32 s0, 0
	s_mov_b32 s0, 0
	s_cselect_b32 s5, s5, s71
	s_cselect_b32 s4, s4, s70
	s_branch .LBB53_8
.LBB53_7:                               ;   in Loop: Header=BB53_4 Depth=1
	s_mov_b32 s0, -1
                                        ; implicit-def: $sgpr4_sgpr5
.LBB53_8:                               ;   in Loop: Header=BB53_4 Depth=1
	v_readlane_b32 s12, v19, 0
	v_readlane_b32 s13, v19, 1
	s_and_not1_b32 vcc_lo, exec_lo, s0
	v_readlane_b32 s14, v19, 2
	v_readlane_b32 s15, v19, 3
	s_cbranch_vccnz .LBB53_10
; %bb.9:                                ;   in Loop: Header=BB53_4 Depth=1
	v_cvt_f32_u32_e32 v6, s18
	s_sub_co_i32 s1, 0, s18
	s_delay_alu instid0(VALU_DEP_1) | instskip(SKIP_1) | instid1(TRANS32_DEP_1)
	v_rcp_iflag_f32_e32 v6, v6
	v_nop
	v_mul_f32_e32 v6, 0x4f7ffffe, v6
	s_delay_alu instid0(VALU_DEP_1) | instskip(NEXT) | instid1(VALU_DEP_1)
	v_cvt_u32_f32_e32 v6, v6
	v_readfirstlane_b32 s0, v6
	s_mul_i32 s1, s1, s0
	s_delay_alu instid0(SALU_CYCLE_1) | instskip(NEXT) | instid1(SALU_CYCLE_1)
	s_mul_hi_u32 s1, s0, s1
	s_add_co_i32 s0, s0, s1
	s_delay_alu instid0(SALU_CYCLE_1) | instskip(NEXT) | instid1(SALU_CYCLE_1)
	s_mul_hi_u32 s0, s22, s0
	s_mul_i32 s1, s0, s18
	s_add_co_i32 s4, s0, 1
	s_sub_co_i32 s1, s22, s1
	s_delay_alu instid0(SALU_CYCLE_1)
	s_sub_co_i32 s5, s1, s18
	s_cmp_ge_u32 s1, s18
	s_cselect_b32 s0, s4, s0
	s_cselect_b32 s1, s5, s1
	s_add_co_i32 s4, s0, 1
	s_cmp_ge_u32 s1, s18
	s_cselect_b32 s82, s4, s0
	s_delay_alu instid0(SALU_CYCLE_1)
	s_mov_b64 s[4:5], s[82:83]
.LBB53_10:                              ;   in Loop: Header=BB53_4 Depth=1
	s_and_b32 s0, s30, exec_lo
	s_cselect_b32 s82, 2, 1
	s_mul_u64 s[80:81], s[2:3], s[12:13]
	s_add_nc_u64 s[16:17], s[82:83], s[4:5]
	s_mov_b32 s0, -1
	v_cmp_lt_u64_e64 s1, s[16:17], 4
	s_mov_b64 s[4:5], s[86:87]
	s_mov_b32 s72, s104
	s_mov_b32 s14, s28
	s_and_b32 vcc_lo, exec_lo, s1
	s_cbranch_vccnz .LBB53_14
; %bb.11:                               ;   in Loop: Header=BB53_4 Depth=1
	v_writelane_b32 v18, s16, 12
	v_readlane_b32 s0, v19, 9
	v_readlane_b32 s1, v19, 10
	s_mul_u64 s[4:5], s[18:19], 3
	s_and_b64 vcc, s[16:17], -4
	v_writelane_b32 v18, s17, 13
	s_lshl_b64 s[22:23], s[18:19], 1
	s_add_nc_u64 s[92:93], s[0:1], s[4:5]
	v_readlane_b32 s0, v19, 7
	v_readlane_b32 s1, v19, 8
	v_writelane_b32 v18, vcc_lo, 14
	v_readlane_b32 s26, v19, 30
	v_readlane_b32 s27, v19, 31
	s_lshl_b64 s[100:101], s[18:19], 2
	s_add_nc_u64 s[94:95], s[0:1], s[22:23]
	v_readlane_b32 s0, v19, 5
	v_readlane_b32 s1, v19, 6
	v_writelane_b32 v18, vcc_hi, 15
	s_mov_b32 s86, s2
	s_mov_b32 s87, s3
	;; [unrolled: 1-line block ×3, first 2 shown]
	s_add_nc_u64 s[28:29], s[0:1], s[18:19]
	v_readlane_b32 s0, v19, 4
	v_readlane_b32 s34, v18, 2
	;; [unrolled: 1-line block ×13, first 2 shown]
	s_mov_b32 s89, s3
	s_mov_b32 s90, s2
	;; [unrolled: 1-line block ×7, first 2 shown]
	s_wait_xcnt 0x0
	s_mov_b32 s78, s100
	s_mov_b32 s79, s101
	;; [unrolled: 1-line block ×4, first 2 shown]
.LBB53_12:                              ;   Parent Loop BB53_4 Depth=1
                                        ; =>  This Inner Loop Header: Depth=2
	s_and_b64 s[4:5], s[98:99], s[76:77]
	s_mov_b32 s82, s28
	s_mov_b32 s74, s94
	;; [unrolled: 1-line block ×5, first 2 shown]
	s_mul_u64 s[4:5], s[4:5], s[34:35]
	s_mul_u64 s[16:17], s[82:83], s[36:37]
	s_add_co_i32 s0, s5, s98
	s_add_co_i32 s4, s17, s28
	s_mul_u64 s[16:17], s[74:75], s[38:39]
	s_mul_u64 s[22:23], s[22:23], s[46:47]
	s_add_co_i32 s16, s17, s94
	s_add_co_i32 s22, s23, s92
	s_lshr_b32 s30, s0, s33
	s_lshr_b32 s0, s4, s72
	s_mov_b32 s31, s83
	s_lshr_b32 s96, s16, s26
	s_lshr_b32 s16, s22, s27
	s_mul_i32 s4, s30, s6
	s_mul_i32 s22, s0, s10
	s_mov_b32 s1, s83
	s_mov_b32 s97, s83
	;; [unrolled: 1-line block ×3, first 2 shown]
	s_mul_u64 s[30:31], s[24:25], s[30:31]
	s_sub_co_i32 s82, s98, s4
	s_mul_i32 s4, s96, s7
	s_sub_co_i32 s72, s28, s22
	s_mul_i32 s22, s16, s84
	s_mov_b32 s73, s83
	s_mul_u64 s[0:1], s[40:41], s[0:1]
	s_mov_b32 s5, s83
	s_mov_b32 s23, s83
	s_lshl_b64 s[30:31], s[30:31], 1
	s_sub_co_i32 s4, s94, s4
	s_sub_co_i32 s22, s92, s22
	s_mul_u64 s[74:75], s[12:13], s[82:83]
	s_mul_u64 s[96:97], s[42:43], s[96:97]
	;; [unrolled: 1-line block ×3, first 2 shown]
	s_lshl_b64 s[0:1], s[0:1], 1
	s_mul_u64 s[72:73], s[48:49], s[72:73]
	s_add_nc_u64 s[30:31], s[8:9], s[30:31]
	s_lshl_b64 s[74:75], s[74:75], 1
	s_lshl_b64 s[96:97], s[96:97], 1
	;; [unrolled: 1-line block ×3, first 2 shown]
	s_mul_u64 s[4:5], s[50:51], s[4:5]
	s_mul_u64 s[22:23], s[52:53], s[22:23]
	s_add_nc_u64 s[0:1], s[8:9], s[0:1]
	s_lshl_b64 s[72:73], s[72:73], 1
	s_add_nc_u64 s[30:31], s[30:31], s[74:75]
	s_lshl_b64 s[74:75], s[80:81], 1
	s_add_nc_u64 s[96:97], s[8:9], s[96:97]
	s_add_nc_u64 s[16:17], s[8:9], s[16:17]
	s_lshl_b64 s[4:5], s[4:5], 1
	s_lshl_b64 s[22:23], s[22:23], 1
	s_add_nc_u64 s[0:1], s[0:1], s[72:73]
	s_add_nc_u64 s[4:5], s[96:97], s[4:5]
	s_add_nc_u64 s[16:17], s[16:17], s[22:23]
	s_add_nc_u64 s[22:23], s[30:31], s[74:75]
	s_add_nc_u64 s[0:1], s[0:1], s[74:75]
	s_add_nc_u64 s[4:5], s[4:5], s[74:75]
	s_wait_xcnt 0x3
	v_add_nc_u64_e32 v[6:7], s[22:23], v[4:5]
	s_add_nc_u64 s[16:17], s[16:17], s[74:75]
	s_wait_xcnt 0x2
	v_add_nc_u64_e32 v[8:9], s[0:1], v[4:5]
	s_wait_xcnt 0x1
	v_add_nc_u64_e32 v[10:11], s[4:5], v[4:5]
	;; [unrolled: 2-line block ×3, first 2 shown]
	s_clause 0x3
	global_load_u16 v14, v[6:7], off
	global_load_u16 v15, v[8:9], off
	;; [unrolled: 1-line block ×4, first 2 shown]
	s_mul_u64 s[0:1], s[92:93], s[60:61]
	s_mul_u64 s[22:23], s[98:99], s[54:55]
	s_mul_u64 s[16:17], s[28:29], s[56:57]
	s_mul_u64 s[4:5], s[94:95], s[58:59]
	s_add_nc_u64 s[22:23], s[22:23], s[2:3]
	s_add_nc_u64 s[0:1], s[0:1], s[90:91]
	;; [unrolled: 1-line block ×4, first 2 shown]
	s_mul_u64 s[0:1], s[0:1], s[68:69]
	s_mul_u64 s[22:23], s[22:23], s[62:63]
	;; [unrolled: 1-line block ×4, first 2 shown]
	s_wait_xcnt 0x3
	v_lshl_add_u64 v[6:7], s[22:23], 1, v[2:3]
	s_add_nc_u64 vcc, vcc, -4
	s_wait_xcnt 0x2
	v_lshl_add_u64 v[8:9], s[16:17], 1, v[2:3]
	s_wait_xcnt 0x1
	v_lshl_add_u64 v[10:11], s[4:5], 1, v[2:3]
	s_mov_b32 s72, s104
	s_wait_xcnt 0x0
	v_lshl_add_u64 v[12:13], s[0:1], 1, v[2:3]
	s_add_nc_u64 s[92:93], s[92:93], s[70:71]
	s_add_nc_u64 s[94:95], s[94:95], s[78:79]
	;; [unrolled: 1-line block ×4, first 2 shown]
	s_cmp_lg_u64 vcc, 0
	s_wait_loadcnt 0x3
	v_cvt_f32_f16_e32 v14, v14
	s_wait_loadcnt 0x2
	v_cvt_f32_f16_e32 v15, v15
	;; [unrolled: 2-line block ×4, first 2 shown]
	v_cvt_pk_bf16_f32 v14, v14, s0
	v_cvt_pk_bf16_f32 v15, v15, s0
	;; [unrolled: 1-line block ×3, first 2 shown]
	s_delay_alu instid0(VALU_DEP_4)
	v_cvt_pk_bf16_f32 v17, v17, s0
	s_clause 0x3
	global_store_b16 v[6:7], v14, off
	global_store_b16 v[8:9], v15, off
	;; [unrolled: 1-line block ×4, first 2 shown]
	s_cbranch_scc1 .LBB53_12
; %bb.13:                               ;   in Loop: Header=BB53_4 Depth=1
	v_readlane_b32 s12, v18, 14
	v_readlane_b32 s4, v18, 12
	;; [unrolled: 1-line block ×15, first 2 shown]
	s_mul_u64 s[0:1], s[12:13], s[18:19]
	s_cmp_lg_u64 s[4:5], s[12:13]
	s_add_nc_u64 s[4:5], s[0:1], s[86:87]
	s_cselect_b32 s0, -1, 0
	v_readlane_b32 s89, v19, 16
	v_readlane_b32 s94, v19, 21
.LBB53_14:                              ;   in Loop: Header=BB53_4 Depth=1
	v_readlane_b32 s70, v19, 28
	v_readlane_b32 s100, v19, 0
	;; [unrolled: 1-line block ×5, first 2 shown]
	s_and_b32 vcc_lo, exec_lo, s0
	v_readlane_b32 s34, v18, 2
	v_readlane_b32 s36, v18, 4
	;; [unrolled: 1-line block ×15, first 2 shown]
	s_cbranch_vccz .LBB53_3
; %bb.15:                               ;   in Loop: Header=BB53_4 Depth=1
	v_readlane_b32 s16, v19, 11
	s_mul_u64 s[0:1], s[90:91], s[4:5]
	v_readlane_b32 s17, v19, 12
	s_add_nc_u64 s[0:1], s[2:3], s[0:1]
	s_wait_xcnt 0x0
	v_mad_nc_u64_u32 v[6:7], s16, s0, v[2:3]
	s_mul_i32 s1, s16, s1
	s_mul_i32 s0, s17, s0
	s_delay_alu instid0(VALU_DEP_1) | instid1(SALU_CYCLE_1)
	v_add3_u32 v7, s1, s0, v7
	v_readlane_b32 s0, v19, 13
	v_readlane_b32 s1, v19, 14
	s_mul_u64 s[22:23], s[0:1], s[18:19]
.LBB53_16:                              ;   Parent Loop BB53_4 Depth=1
                                        ; =>  This Inner Loop Header: Depth=2
	s_and_b64 s[0:1], s[4:5], s[76:77]
	s_mov_b32 s17, s83
	s_mul_u64 s[0:1], s[96:97], s[0:1]
	s_lshl_b64 s[28:29], s[80:81], 1
	s_add_co_i32 s0, s4, s1
	s_delay_alu instid0(SALU_CYCLE_1) | instskip(NEXT) | instid1(SALU_CYCLE_1)
	s_lshr_b32 s16, s0, s93
	s_mul_i32 s30, s85, s16
	s_mul_u64 s[0:1], s[24:25], s[16:17]
	s_add_co_i32 s82, s4, s30
	s_lshl_b64 s[0:1], s[0:1], 1
	s_mul_u64 s[16:17], s[102:103], s[82:83]
	s_add_nc_u64 s[0:1], s[8:9], s[0:1]
	s_lshl_b64 s[16:17], s[16:17], 1
	s_add_nc_u64 s[4:5], s[4:5], s[18:19]
	s_add_nc_u64 s[0:1], s[0:1], s[16:17]
	s_delay_alu instid0(SALU_CYCLE_1)
	s_add_nc_u64 s[0:1], s[0:1], s[28:29]
	s_wait_xcnt 0x2
	v_lshl_add_u64 v[8:9], v[0:1], 1, s[0:1]
	v_cmp_ge_i64_e64 s0, s[4:5], s[20:21]
	global_load_u16 v8, v[8:9], off
	s_and_b32 vcc_lo, exec_lo, s0
	s_wait_loadcnt 0x0
	v_cvt_f32_f16_e32 v8, v8
	s_delay_alu instid0(VALU_DEP_1)
	v_cvt_pk_bf16_f32 v8, v8, s0
	global_store_b16 v[6:7], v8, off
	s_wait_xcnt 0x0
	v_add_nc_u64_e32 v[6:7], s[22:23], v[6:7]
	s_cbranch_vccz .LBB53_16
	s_branch .LBB53_3
.LBB53_17:
	s_endpgm
	.section	.rodata,"a",@progbits
	.p2align	6, 0x0
	.amdhsa_kernel _ZL13convert_unaryI6__half14__hip_bfloat16EvPKvPT0_lll15HIP_vector_typeIjLj3EElll
		.amdhsa_group_segment_fixed_size 0
		.amdhsa_private_segment_fixed_size 0
		.amdhsa_kernarg_size 336
		.amdhsa_user_sgpr_count 2
		.amdhsa_user_sgpr_dispatch_ptr 0
		.amdhsa_user_sgpr_queue_ptr 0
		.amdhsa_user_sgpr_kernarg_segment_ptr 1
		.amdhsa_user_sgpr_dispatch_id 0
		.amdhsa_user_sgpr_kernarg_preload_length 0
		.amdhsa_user_sgpr_kernarg_preload_offset 0
		.amdhsa_user_sgpr_private_segment_size 0
		.amdhsa_wavefront_size32 1
		.amdhsa_uses_dynamic_stack 0
		.amdhsa_enable_private_segment 0
		.amdhsa_system_sgpr_workgroup_id_x 1
		.amdhsa_system_sgpr_workgroup_id_y 1
		.amdhsa_system_sgpr_workgroup_id_z 1
		.amdhsa_system_sgpr_workgroup_info 0
		.amdhsa_system_vgpr_workitem_id 0
		.amdhsa_next_free_vgpr 20
		.amdhsa_next_free_sgpr 105
		.amdhsa_named_barrier_count 0
		.amdhsa_reserve_vcc 1
		.amdhsa_float_round_mode_32 0
		.amdhsa_float_round_mode_16_64 0
		.amdhsa_float_denorm_mode_32 3
		.amdhsa_float_denorm_mode_16_64 3
		.amdhsa_fp16_overflow 0
		.amdhsa_memory_ordered 1
		.amdhsa_forward_progress 1
		.amdhsa_inst_pref_size 25
		.amdhsa_round_robin_scheduling 0
		.amdhsa_exception_fp_ieee_invalid_op 0
		.amdhsa_exception_fp_denorm_src 0
		.amdhsa_exception_fp_ieee_div_zero 0
		.amdhsa_exception_fp_ieee_overflow 0
		.amdhsa_exception_fp_ieee_underflow 0
		.amdhsa_exception_fp_ieee_inexact 0
		.amdhsa_exception_int_div_zero 0
	.end_amdhsa_kernel
	.section	.text._ZL13convert_unaryI6__half14__hip_bfloat16EvPKvPT0_lll15HIP_vector_typeIjLj3EElll,"axG",@progbits,_ZL13convert_unaryI6__half14__hip_bfloat16EvPKvPT0_lll15HIP_vector_typeIjLj3EElll,comdat
.Lfunc_end53:
	.size	_ZL13convert_unaryI6__half14__hip_bfloat16EvPKvPT0_lll15HIP_vector_typeIjLj3EElll, .Lfunc_end53-_ZL13convert_unaryI6__half14__hip_bfloat16EvPKvPT0_lll15HIP_vector_typeIjLj3EElll
                                        ; -- End function
	.set _ZL13convert_unaryI6__half14__hip_bfloat16EvPKvPT0_lll15HIP_vector_typeIjLj3EElll.num_vgpr, 20
	.set _ZL13convert_unaryI6__half14__hip_bfloat16EvPKvPT0_lll15HIP_vector_typeIjLj3EElll.num_agpr, 0
	.set _ZL13convert_unaryI6__half14__hip_bfloat16EvPKvPT0_lll15HIP_vector_typeIjLj3EElll.numbered_sgpr, 105
	.set _ZL13convert_unaryI6__half14__hip_bfloat16EvPKvPT0_lll15HIP_vector_typeIjLj3EElll.num_named_barrier, 0
	.set _ZL13convert_unaryI6__half14__hip_bfloat16EvPKvPT0_lll15HIP_vector_typeIjLj3EElll.private_seg_size, 0
	.set _ZL13convert_unaryI6__half14__hip_bfloat16EvPKvPT0_lll15HIP_vector_typeIjLj3EElll.uses_vcc, 1
	.set _ZL13convert_unaryI6__half14__hip_bfloat16EvPKvPT0_lll15HIP_vector_typeIjLj3EElll.uses_flat_scratch, 0
	.set _ZL13convert_unaryI6__half14__hip_bfloat16EvPKvPT0_lll15HIP_vector_typeIjLj3EElll.has_dyn_sized_stack, 0
	.set _ZL13convert_unaryI6__half14__hip_bfloat16EvPKvPT0_lll15HIP_vector_typeIjLj3EElll.has_recursion, 0
	.set _ZL13convert_unaryI6__half14__hip_bfloat16EvPKvPT0_lll15HIP_vector_typeIjLj3EElll.has_indirect_call, 0
	.section	.AMDGPU.csdata,"",@progbits
; Kernel info:
; codeLenInByte = 3124
; TotalNumSgprs: 107
; NumVgprs: 20
; ScratchSize: 0
; MemoryBound: 0
; FloatMode: 240
; IeeeMode: 1
; LDSByteSize: 0 bytes/workgroup (compile time only)
; SGPRBlocks: 0
; VGPRBlocks: 1
; NumSGPRsForWavesPerEU: 107
; NumVGPRsForWavesPerEU: 20
; NamedBarCnt: 0
; Occupancy: 16
; WaveLimiterHint : 0
; COMPUTE_PGM_RSRC2:SCRATCH_EN: 0
; COMPUTE_PGM_RSRC2:USER_SGPR: 2
; COMPUTE_PGM_RSRC2:TRAP_HANDLER: 0
; COMPUTE_PGM_RSRC2:TGID_X_EN: 1
; COMPUTE_PGM_RSRC2:TGID_Y_EN: 1
; COMPUTE_PGM_RSRC2:TGID_Z_EN: 1
; COMPUTE_PGM_RSRC2:TIDIG_COMP_CNT: 0
	.section	.text._ZL13convert_unaryI6__halffEvPKvPT0_lll15HIP_vector_typeIjLj3EElll,"axG",@progbits,_ZL13convert_unaryI6__halffEvPKvPT0_lll15HIP_vector_typeIjLj3EElll,comdat
	.globl	_ZL13convert_unaryI6__halffEvPKvPT0_lll15HIP_vector_typeIjLj3EElll ; -- Begin function _ZL13convert_unaryI6__halffEvPKvPT0_lll15HIP_vector_typeIjLj3EElll
	.p2align	8
	.type	_ZL13convert_unaryI6__halffEvPKvPT0_lll15HIP_vector_typeIjLj3EElll,@function
_ZL13convert_unaryI6__halffEvPKvPT0_lll15HIP_vector_typeIjLj3EElll: ; @_ZL13convert_unaryI6__halffEvPKvPT0_lll15HIP_vector_typeIjLj3EElll
; %bb.0:
	s_clause 0x1
	s_load_b32 s2, s[0:1], 0x5c
	s_load_b128 s[4:7], s[0:1], 0x10
	s_bfe_u32 s3, ttmp6, 0x4000c
	s_and_b32 s8, ttmp6, 15
	s_add_co_i32 s3, s3, 1
	s_getreg_b32 s19, hwreg(HW_REG_IB_STS2, 6, 4)
	s_mul_i32 s3, ttmp9, s3
	v_mov_b32_e32 v1, 0
	s_add_co_i32 s8, s8, s3
	s_wait_kmcnt 0x0
	s_and_b32 s2, s2, 0xffff
	s_cmp_eq_u32 s19, 0
	s_cselect_b32 s3, ttmp9, s8
	s_delay_alu instid0(SALU_CYCLE_1) | instskip(SKIP_2) | instid1(VALU_DEP_1)
	v_mad_nc_u64_u32 v[0:1], s2, s3, v[0:1]
	s_mov_b32 s3, 0
	s_mov_b32 s2, exec_lo
	v_cmpx_gt_i64_e64 s[4:5], v[0:1]
	s_cbranch_execz .LBB54_16
; %bb.1:
	s_bfe_u32 s2, ttmp6, 0x40010
	s_load_b64 s[20:21], s[0:1], 0x20
	s_and_b32 s8, ttmp7, 0xffff
	s_add_co_i32 s2, s2, 1
	s_bfe_u32 s9, ttmp6, 0x40004
	s_mul_i32 s2, s8, s2
	s_delay_alu instid0(SALU_CYCLE_1) | instskip(SKIP_2) | instid1(SALU_CYCLE_1)
	s_add_co_i32 s9, s9, s2
	s_cmp_eq_u32 s19, 0
	s_cselect_b32 s2, s8, s9
	v_cmp_le_i64_e64 s8, s[6:7], s[2:3]
	s_and_b32 vcc_lo, exec_lo, s8
	s_cbranch_vccnz .LBB54_16
; %bb.2:
	s_clause 0x1
	s_load_b128 s[8:11], s[0:1], 0x0
	s_load_b96 s[16:18], s[0:1], 0x28
	s_add_nc_u64 s[22:23], s[0:1], 0x50
	s_clause 0x1
	s_load_b128 s[12:15], s[0:1], 0x38
	s_load_b64 s[24:25], s[0:1], 0x48
	s_load_b32 s30, s[22:23], 0x4
	s_bfe_u32 s26, ttmp6, 0x40014
	s_wait_xcnt 0x0
	s_lshr_b32 s0, ttmp7, 16
	s_add_co_i32 s26, s26, 1
	s_bfe_u32 s28, ttmp6, 0x40008
	s_mul_i32 s26, s0, s26
	s_mov_b32 s1, 0
	s_add_co_i32 s28, s28, s26
	s_cmp_eq_u32 s19, 0
	s_mov_b32 s27, s1
	s_cselect_b32 s26, s0, s28
	v_lshlrev_b64_e32 v[4:5], 1, v[0:1]
	s_wait_kmcnt 0x0
	v_cmp_gt_i64_e64 s77, s[20:21], s[26:27]
	s_mul_u64 s[54:55], s[6:7], s[4:5]
	s_mov_b32 s29, s1
	s_mov_b32 s31, s1
	v_lshl_add_u64 v[2:3], v[0:1], 2, s[10:11]
	s_mov_b32 s28, s16
	s_mov_b32 s10, s16
	s_mov_b32 s11, s1
	s_mov_b32 s34, s16
	s_mov_b32 s35, s1
	s_mov_b32 s16, s17
	s_mov_b32 s33, s18
	s_mov_b32 s74, s18
	s_mov_b32 s36, s24
	s_mov_b32 s37, s25
	s_mov_b32 s38, s14
	s_mov_b32 s39, s15
	s_mov_b32 s40, s14
	s_mov_b32 s41, s15
	s_mov_b32 s42, s6
	s_mov_b32 s43, s7
	s_mov_b32 s44, s6
	s_mov_b32 s45, s7
	s_mov_b32 s46, s4
	s_mov_b32 s47, s5
	s_mov_b32 s48, s4
	s_mov_b32 s49, s5
	s_mov_b32 s75, s26
	s_mov_b32 s76, s1
	s_mov_b32 s50, s26
	s_mov_b32 s51, s1
	s_lshl_b64 s[52:53], s[4:5], 2
	s_mov_b64 s[4:5], 0xffffffff
	s_lshl_b64 s[54:55], s[54:55], 2
	s_sub_co_i32 s78, 0, s18
	s_mov_b32 s79, 0x4f800000
	s_branch .LBB54_4
.LBB54_3:                               ;   in Loop: Header=BB54_4 Depth=1
	s_add_nc_u64 s[2:3], s[2:3], s[30:31]
	s_delay_alu instid0(SALU_CYCLE_1)
	v_cmp_ge_i64_e64 s0, s[2:3], s[6:7]
	s_and_b32 vcc_lo, exec_lo, s0
	s_cbranch_vccnz .LBB54_16
.LBB54_4:                               ; =>This Loop Header: Depth=1
                                        ;     Child Loop BB54_10 Depth 2
                                        ;     Child Loop BB54_14 Depth 2
	s_and_not1_b32 vcc_lo, exec_lo, s77
	s_cbranch_vccnz .LBB54_3
; %bb.5:                                ;   in Loop: Header=BB54_4 Depth=1
	s_load_b32 s18, s[22:23], 0x8
	s_mov_b32 s19, s1
	s_wait_kmcnt 0x0
	s_add_nc_u64 s[56:57], s[26:27], s[18:19]
	s_delay_alu instid0(SALU_CYCLE_1) | instskip(SKIP_1) | instid1(VALU_DEP_1)
	v_max_i64 v[6:7], s[20:21], s[56:57]
	v_cmp_lt_i64_e64 s60, s[56:57], s[20:21]
	v_cndmask_b32_e64 v8, 0, 1, s60
	s_delay_alu instid0(VALU_DEP_1) | instskip(NEXT) | instid1(VALU_DEP_4)
	v_readfirstlane_b32 s0, v8
	v_readfirstlane_b32 s58, v6
	;; [unrolled: 1-line block ×3, first 2 shown]
	s_sub_nc_u64 s[58:59], s[58:59], s[0:1]
	s_delay_alu instid0(SALU_CYCLE_1) | instskip(NEXT) | instid1(SALU_CYCLE_1)
	s_sub_nc_u64 s[56:57], s[58:59], s[56:57]
	s_and_b64 s[58:59], s[56:57], 0xffffffff00000000
	s_delay_alu instid0(SALU_CYCLE_1)
	s_cmp_lg_u64 s[58:59], 0
	s_cbranch_scc0 .LBB54_15
; %bb.6:                                ;   in Loop: Header=BB54_4 Depth=1
	s_cvt_f32_u32 s0, s18
	s_sub_nc_u64 s[62:63], 0, s[18:19]
	s_delay_alu instid0(SALU_CYCLE_2) | instskip(NEXT) | instid1(SALU_CYCLE_3)
	s_fmamk_f32 s0, s79, 0x0, s0
	v_s_rcp_f32 s0, s0
	s_delay_alu instid0(TRANS32_DEP_1) | instskip(NEXT) | instid1(SALU_CYCLE_3)
	s_mul_f32 s0, s0, 0x5f7ffffc
	s_mul_f32 s58, s0, 0x2f800000
	s_delay_alu instid0(SALU_CYCLE_3) | instskip(NEXT) | instid1(SALU_CYCLE_3)
	s_trunc_f32 s58, s58
	s_fmamk_f32 s0, s58, 0xcf800000, s0
	s_cvt_u32_f32 s59, s58
	s_delay_alu instid0(SALU_CYCLE_2) | instskip(NEXT) | instid1(SALU_CYCLE_3)
	s_cvt_u32_f32 s58, s0
	s_mul_u64 s[64:65], s[62:63], s[58:59]
	s_delay_alu instid0(SALU_CYCLE_1)
	s_mul_hi_u32 s67, s58, s65
	s_mul_i32 s66, s58, s65
	s_mul_hi_u32 s0, s58, s64
	s_mul_i32 s68, s59, s64
	s_add_nc_u64 s[66:67], s[0:1], s[66:67]
	s_mul_hi_u32 s61, s59, s64
	s_mul_hi_u32 s69, s59, s65
	s_add_co_u32 s0, s66, s68
	s_add_co_ci_u32 s0, s67, s61
	s_mul_i32 s64, s59, s65
	s_add_co_ci_u32 s65, s69, 0
	s_delay_alu instid0(SALU_CYCLE_1) | instskip(NEXT) | instid1(SALU_CYCLE_1)
	s_add_nc_u64 s[64:65], s[0:1], s[64:65]
	s_add_co_u32 s58, s58, s64
	s_cselect_b32 s0, -1, 0
	s_delay_alu instid0(SALU_CYCLE_1) | instskip(SKIP_1) | instid1(SALU_CYCLE_1)
	s_cmp_lg_u32 s0, 0
	s_add_co_ci_u32 s59, s59, s65
	s_mul_u64 s[62:63], s[62:63], s[58:59]
	s_delay_alu instid0(SALU_CYCLE_1)
	s_mul_hi_u32 s65, s58, s63
	s_mul_i32 s64, s58, s63
	s_mul_hi_u32 s0, s58, s62
	s_mul_i32 s66, s59, s62
	s_add_nc_u64 s[64:65], s[0:1], s[64:65]
	s_mul_hi_u32 s61, s59, s62
	s_mul_hi_u32 s67, s59, s63
	s_add_co_u32 s0, s64, s66
	s_add_co_ci_u32 s0, s65, s61
	s_mul_i32 s62, s59, s63
	s_add_co_ci_u32 s63, s67, 0
	s_delay_alu instid0(SALU_CYCLE_1) | instskip(NEXT) | instid1(SALU_CYCLE_1)
	s_add_nc_u64 s[62:63], s[0:1], s[62:63]
	s_add_co_u32 s58, s58, s62
	s_cselect_b32 s61, -1, 0
	s_mul_hi_u32 s0, s56, s58
	s_cmp_lg_u32 s61, 0
	s_mul_hi_u32 s61, s57, s58
	s_add_co_ci_u32 s62, s59, s63
	s_mul_i32 s63, s57, s58
	s_mul_hi_u32 s59, s56, s62
	s_mul_i32 s58, s56, s62
	s_mul_hi_u32 s64, s57, s62
	s_add_nc_u64 s[58:59], s[0:1], s[58:59]
	s_mul_i32 s62, s57, s62
	s_add_co_u32 s0, s58, s63
	s_add_co_ci_u32 s0, s59, s61
	s_add_co_ci_u32 s63, s64, 0
	s_delay_alu instid0(SALU_CYCLE_1) | instskip(NEXT) | instid1(SALU_CYCLE_1)
	s_add_nc_u64 s[58:59], s[0:1], s[62:63]
	s_and_b64 s[62:63], s[58:59], 0xffffffff00000000
	s_delay_alu instid0(SALU_CYCLE_1) | instskip(NEXT) | instid1(SALU_CYCLE_1)
	s_or_b32 s62, s62, s58
	s_mul_u64 s[58:59], s[18:19], s[62:63]
	s_add_nc_u64 s[64:65], s[62:63], 2
	s_sub_co_u32 s0, s56, s58
	s_cselect_b32 s58, -1, 0
	s_delay_alu instid0(SALU_CYCLE_1) | instskip(SKIP_3) | instid1(SALU_CYCLE_1)
	s_cmp_lg_u32 s58, 0
	s_sub_co_ci_u32 s57, s57, s59
	s_sub_co_u32 s58, s0, s18
	s_cselect_b32 s59, -1, 0
	s_cmp_lg_u32 s59, 0
	s_sub_co_ci_u32 s59, s57, 0
	s_cmp_ge_u32 s58, s18
	s_cselect_b32 s61, -1, 0
	s_cmp_eq_u32 s59, 0
	s_add_nc_u64 s[58:59], s[62:63], 1
	s_cselect_b32 s61, s61, -1
	s_delay_alu instid0(SALU_CYCLE_1)
	s_cmp_lg_u32 s61, 0
	s_cselect_b32 s58, s64, s58
	s_cselect_b32 s59, s65, s59
	s_cmp_ge_u32 s0, s18
	s_cselect_b32 s0, -1, 0
	s_cmp_eq_u32 s57, 0
	s_cselect_b32 s0, s0, -1
	s_delay_alu instid0(SALU_CYCLE_1)
	s_cmp_lg_u32 s0, 0
	s_cselect_b32 s59, s59, s63
	s_cselect_b32 s58, s58, s62
	s_cbranch_execnz .LBB54_8
.LBB54_7:                               ;   in Loop: Header=BB54_4 Depth=1
	v_cvt_f32_u32_e32 v6, s18
	s_sub_co_i32 s57, 0, s18
	s_delay_alu instid0(VALU_DEP_1) | instskip(SKIP_1) | instid1(TRANS32_DEP_1)
	v_rcp_iflag_f32_e32 v6, v6
	v_nop
	v_mul_f32_e32 v6, 0x4f7ffffe, v6
	s_delay_alu instid0(VALU_DEP_1) | instskip(NEXT) | instid1(VALU_DEP_1)
	v_cvt_u32_f32_e32 v6, v6
	v_readfirstlane_b32 s0, v6
	s_mul_i32 s57, s57, s0
	s_delay_alu instid0(SALU_CYCLE_1) | instskip(NEXT) | instid1(SALU_CYCLE_1)
	s_mul_hi_u32 s57, s0, s57
	s_add_co_i32 s0, s0, s57
	s_delay_alu instid0(SALU_CYCLE_1) | instskip(NEXT) | instid1(SALU_CYCLE_1)
	s_mul_hi_u32 s0, s56, s0
	s_mul_i32 s57, s0, s18
	s_delay_alu instid0(SALU_CYCLE_1)
	s_sub_co_i32 s56, s56, s57
	s_add_co_i32 s57, s0, 1
	s_sub_co_i32 s58, s56, s18
	s_cmp_ge_u32 s56, s18
	s_cselect_b32 s0, s57, s0
	s_cselect_b32 s56, s58, s56
	s_add_co_i32 s57, s0, 1
	s_cmp_ge_u32 s56, s18
	s_cselect_b32 s0, s57, s0
	s_delay_alu instid0(SALU_CYCLE_1)
	s_mov_b64 s[58:59], s[0:1]
.LBB54_8:                               ;   in Loop: Header=BB54_4 Depth=1
	s_and_b32 s0, s60, exec_lo
	s_cselect_b32 s0, 2, 1
	s_mul_u64 s[56:57], s[2:3], s[12:13]
	s_add_nc_u64 s[58:59], s[0:1], s[58:59]
	s_mov_b32 s0, -1
	v_cmp_lt_u64_e64 s60, s[58:59], 2
	s_and_b32 vcc_lo, exec_lo, s60
	s_mov_b64 s[60:61], s[26:27]
	s_cbranch_vccnz .LBB54_12
; %bb.9:                                ;   in Loop: Header=BB54_4 Depth=1
	s_and_b64 s[60:61], s[58:59], -2
	s_lshl_b64 s[68:69], s[18:19], 1
	s_mov_b32 s62, s2
	s_mov_b32 s63, s3
	s_add_nc_u64 s[64:65], s[50:51], s[18:19]
	s_mov_b32 s66, s75
	s_mov_b32 s67, s76
	;; [unrolled: 1-line block ×4, first 2 shown]
	s_mov_b64 s[72:73], s[60:61]
.LBB54_10:                              ;   Parent Loop BB54_4 Depth=1
                                        ; =>  This Inner Loop Header: Depth=2
	s_and_b64 s[80:81], s[66:67], s[4:5]
	s_mov_b32 s0, s64
	s_mul_u64 s[80:81], s[80:81], s[10:11]
	s_mul_u64 s[90:91], s[0:1], s[34:35]
	s_add_co_i32 s0, s81, s66
	s_add_co_i32 s80, s91, s64
	s_lshr_b32 s84, s0, s16
	s_lshr_b32 s86, s80, s17
	s_mov_b32 s85, s1
	s_mul_i32 s0, s84, s33
	s_mov_b32 s87, s1
	s_mul_i32 s82, s86, s74
	s_mul_u64 s[84:85], s[24:25], s[84:85]
	s_sub_co_i32 s0, s66, s0
	s_mov_b32 s83, s1
	s_mul_u64 s[80:81], s[36:37], s[86:87]
	s_sub_co_i32 s82, s64, s82
	s_lshl_b64 s[84:85], s[84:85], 1
	s_mul_u64 s[86:87], s[38:39], s[0:1]
	s_lshl_b64 s[80:81], s[80:81], 1
	s_mul_u64 s[82:83], s[40:41], s[82:83]
	s_add_nc_u64 s[84:85], s[8:9], s[84:85]
	s_lshl_b64 s[86:87], s[86:87], 1
	s_add_nc_u64 s[80:81], s[8:9], s[80:81]
	s_lshl_b64 s[82:83], s[82:83], 1
	s_lshl_b64 s[88:89], s[56:57], 1
	s_add_nc_u64 s[84:85], s[84:85], s[86:87]
	s_add_nc_u64 s[80:81], s[80:81], s[82:83]
	s_add_nc_u64 s[82:83], s[84:85], s[88:89]
	s_add_nc_u64 s[80:81], s[80:81], s[88:89]
	s_wait_xcnt 0x0
	v_add_nc_u64_e32 v[6:7], s[82:83], v[4:5]
	v_add_nc_u64_e32 v[8:9], s[80:81], v[4:5]
	s_clause 0x1
	global_load_u16 v10, v[6:7], off
	global_load_u16 v11, v[8:9], off
	s_mul_u64 s[82:83], s[66:67], s[42:43]
	s_mul_u64 s[80:81], s[64:65], s[44:45]
	s_add_nc_u64 s[82:83], s[82:83], s[2:3]
	s_add_nc_u64 s[80:81], s[80:81], s[62:63]
	s_mul_u64 s[82:83], s[82:83], s[46:47]
	s_mul_u64 s[80:81], s[80:81], s[48:49]
	s_wait_xcnt 0x1
	v_lshl_add_u64 v[6:7], s[82:83], 2, v[2:3]
	s_add_nc_u64 s[72:73], s[72:73], -2
	s_wait_xcnt 0x0
	v_lshl_add_u64 v[8:9], s[80:81], 2, v[2:3]
	s_add_nc_u64 s[64:65], s[64:65], s[70:71]
	s_add_nc_u64 s[66:67], s[66:67], s[68:69]
	s_cmp_lg_u64 s[72:73], 0
	s_wait_loadcnt 0x1
	v_cvt_f32_f16_e32 v10, v10
	s_wait_loadcnt 0x0
	v_cvt_f32_f16_e32 v11, v11
	s_clause 0x1
	global_store_b32 v[6:7], v10, off
	global_store_b32 v[8:9], v11, off
	s_cbranch_scc1 .LBB54_10
; %bb.11:                               ;   in Loop: Header=BB54_4 Depth=1
	s_mul_u64 s[62:63], s[60:61], s[18:19]
	s_cmp_lg_u64 s[58:59], s[60:61]
	s_add_nc_u64 s[60:61], s[62:63], s[26:27]
	s_cselect_b32 s0, -1, 0
.LBB54_12:                              ;   in Loop: Header=BB54_4 Depth=1
	s_delay_alu instid0(SALU_CYCLE_1)
	s_and_b32 vcc_lo, exec_lo, s0
	s_cbranch_vccz .LBB54_3
; %bb.13:                               ;   in Loop: Header=BB54_4 Depth=1
	s_mul_u64 s[58:59], s[6:7], s[60:61]
	s_delay_alu instid0(SALU_CYCLE_1)
	s_add_nc_u64 s[58:59], s[2:3], s[58:59]
	s_wait_xcnt 0x0
	v_mad_nc_u64_u32 v[6:7], s52, s58, v[2:3]
	s_mul_i32 s0, s53, s58
	s_mul_i32 s58, s52, s59
	s_delay_alu instid0(VALU_DEP_1) | instid1(SALU_CYCLE_1)
	v_add3_u32 v7, s58, s0, v7
	s_mul_u64 s[58:59], s[54:55], s[18:19]
.LBB54_14:                              ;   Parent Loop BB54_4 Depth=1
                                        ; =>  This Inner Loop Header: Depth=2
	s_and_b64 s[62:63], s[60:61], s[4:5]
	s_mov_b32 s65, s1
	s_mul_u64 s[62:63], s[28:29], s[62:63]
	s_lshl_b64 s[66:67], s[56:57], 1
	s_add_co_i32 s0, s60, s63
	s_delay_alu instid0(SALU_CYCLE_1) | instskip(NEXT) | instid1(SALU_CYCLE_1)
	s_lshr_b32 s64, s0, s17
	s_mul_i32 s0, s78, s64
	s_mul_u64 s[62:63], s[24:25], s[64:65]
	s_add_co_i32 s0, s60, s0
	s_lshl_b64 s[62:63], s[62:63], 1
	s_mul_u64 s[64:65], s[14:15], s[0:1]
	s_add_nc_u64 s[62:63], s[8:9], s[62:63]
	s_lshl_b64 s[64:65], s[64:65], 1
	s_add_nc_u64 s[60:61], s[60:61], s[18:19]
	s_add_nc_u64 s[62:63], s[62:63], s[64:65]
	v_cmp_ge_i64_e64 s0, s[60:61], s[20:21]
	s_add_nc_u64 s[62:63], s[62:63], s[66:67]
	s_wait_xcnt 0x0
	v_lshl_add_u64 v[8:9], v[0:1], 1, s[62:63]
	s_and_b32 vcc_lo, exec_lo, s0
	global_load_u16 v8, v[8:9], off
	s_wait_loadcnt 0x0
	v_cvt_f32_f16_e32 v8, v8
	global_store_b32 v[6:7], v8, off
	s_wait_xcnt 0x0
	v_add_nc_u64_e32 v[6:7], s[58:59], v[6:7]
	s_cbranch_vccz .LBB54_14
	s_branch .LBB54_3
.LBB54_15:                              ;   in Loop: Header=BB54_4 Depth=1
                                        ; implicit-def: $sgpr58_sgpr59
	s_branch .LBB54_7
.LBB54_16:
	s_endpgm
	.section	.rodata,"a",@progbits
	.p2align	6, 0x0
	.amdhsa_kernel _ZL13convert_unaryI6__halffEvPKvPT0_lll15HIP_vector_typeIjLj3EElll
		.amdhsa_group_segment_fixed_size 0
		.amdhsa_private_segment_fixed_size 0
		.amdhsa_kernarg_size 336
		.amdhsa_user_sgpr_count 2
		.amdhsa_user_sgpr_dispatch_ptr 0
		.amdhsa_user_sgpr_queue_ptr 0
		.amdhsa_user_sgpr_kernarg_segment_ptr 1
		.amdhsa_user_sgpr_dispatch_id 0
		.amdhsa_user_sgpr_kernarg_preload_length 0
		.amdhsa_user_sgpr_kernarg_preload_offset 0
		.amdhsa_user_sgpr_private_segment_size 0
		.amdhsa_wavefront_size32 1
		.amdhsa_uses_dynamic_stack 0
		.amdhsa_enable_private_segment 0
		.amdhsa_system_sgpr_workgroup_id_x 1
		.amdhsa_system_sgpr_workgroup_id_y 1
		.amdhsa_system_sgpr_workgroup_id_z 1
		.amdhsa_system_sgpr_workgroup_info 0
		.amdhsa_system_vgpr_workitem_id 0
		.amdhsa_next_free_vgpr 12
		.amdhsa_next_free_sgpr 92
		.amdhsa_named_barrier_count 0
		.amdhsa_reserve_vcc 1
		.amdhsa_float_round_mode_32 0
		.amdhsa_float_round_mode_16_64 0
		.amdhsa_float_denorm_mode_32 3
		.amdhsa_float_denorm_mode_16_64 3
		.amdhsa_fp16_overflow 0
		.amdhsa_memory_ordered 1
		.amdhsa_forward_progress 1
		.amdhsa_inst_pref_size 14
		.amdhsa_round_robin_scheduling 0
		.amdhsa_exception_fp_ieee_invalid_op 0
		.amdhsa_exception_fp_denorm_src 0
		.amdhsa_exception_fp_ieee_div_zero 0
		.amdhsa_exception_fp_ieee_overflow 0
		.amdhsa_exception_fp_ieee_underflow 0
		.amdhsa_exception_fp_ieee_inexact 0
		.amdhsa_exception_int_div_zero 0
	.end_amdhsa_kernel
	.section	.text._ZL13convert_unaryI6__halffEvPKvPT0_lll15HIP_vector_typeIjLj3EElll,"axG",@progbits,_ZL13convert_unaryI6__halffEvPKvPT0_lll15HIP_vector_typeIjLj3EElll,comdat
.Lfunc_end54:
	.size	_ZL13convert_unaryI6__halffEvPKvPT0_lll15HIP_vector_typeIjLj3EElll, .Lfunc_end54-_ZL13convert_unaryI6__halffEvPKvPT0_lll15HIP_vector_typeIjLj3EElll
                                        ; -- End function
	.set _ZL13convert_unaryI6__halffEvPKvPT0_lll15HIP_vector_typeIjLj3EElll.num_vgpr, 12
	.set _ZL13convert_unaryI6__halffEvPKvPT0_lll15HIP_vector_typeIjLj3EElll.num_agpr, 0
	.set _ZL13convert_unaryI6__halffEvPKvPT0_lll15HIP_vector_typeIjLj3EElll.numbered_sgpr, 92
	.set _ZL13convert_unaryI6__halffEvPKvPT0_lll15HIP_vector_typeIjLj3EElll.num_named_barrier, 0
	.set _ZL13convert_unaryI6__halffEvPKvPT0_lll15HIP_vector_typeIjLj3EElll.private_seg_size, 0
	.set _ZL13convert_unaryI6__halffEvPKvPT0_lll15HIP_vector_typeIjLj3EElll.uses_vcc, 1
	.set _ZL13convert_unaryI6__halffEvPKvPT0_lll15HIP_vector_typeIjLj3EElll.uses_flat_scratch, 0
	.set _ZL13convert_unaryI6__halffEvPKvPT0_lll15HIP_vector_typeIjLj3EElll.has_dyn_sized_stack, 0
	.set _ZL13convert_unaryI6__halffEvPKvPT0_lll15HIP_vector_typeIjLj3EElll.has_recursion, 0
	.set _ZL13convert_unaryI6__halffEvPKvPT0_lll15HIP_vector_typeIjLj3EElll.has_indirect_call, 0
	.section	.AMDGPU.csdata,"",@progbits
; Kernel info:
; codeLenInByte = 1700
; TotalNumSgprs: 94
; NumVgprs: 12
; ScratchSize: 0
; MemoryBound: 0
; FloatMode: 240
; IeeeMode: 1
; LDSByteSize: 0 bytes/workgroup (compile time only)
; SGPRBlocks: 0
; VGPRBlocks: 0
; NumSGPRsForWavesPerEU: 94
; NumVGPRsForWavesPerEU: 12
; NamedBarCnt: 0
; Occupancy: 16
; WaveLimiterHint : 0
; COMPUTE_PGM_RSRC2:SCRATCH_EN: 0
; COMPUTE_PGM_RSRC2:USER_SGPR: 2
; COMPUTE_PGM_RSRC2:TRAP_HANDLER: 0
; COMPUTE_PGM_RSRC2:TGID_X_EN: 1
; COMPUTE_PGM_RSRC2:TGID_Y_EN: 1
; COMPUTE_PGM_RSRC2:TGID_Z_EN: 1
; COMPUTE_PGM_RSRC2:TIDIG_COMP_CNT: 0
	.section	.text._ZL16dequantize_blockILi128ELi1EXadL_ZL15dequantize_q1_0PKvliR15HIP_vector_typeIfLj2EEEEfEvS1_PT2_lllS2_IjLj3EElll,"axG",@progbits,_ZL16dequantize_blockILi128ELi1EXadL_ZL15dequantize_q1_0PKvliR15HIP_vector_typeIfLj2EEEEfEvS1_PT2_lllS2_IjLj3EElll,comdat
	.globl	_ZL16dequantize_blockILi128ELi1EXadL_ZL15dequantize_q1_0PKvliR15HIP_vector_typeIfLj2EEEEfEvS1_PT2_lllS2_IjLj3EElll ; -- Begin function _ZL16dequantize_blockILi128ELi1EXadL_ZL15dequantize_q1_0PKvliR15HIP_vector_typeIfLj2EEEEfEvS1_PT2_lllS2_IjLj3EElll
	.p2align	8
	.type	_ZL16dequantize_blockILi128ELi1EXadL_ZL15dequantize_q1_0PKvliR15HIP_vector_typeIfLj2EEEEfEvS1_PT2_lllS2_IjLj3EElll,@function
_ZL16dequantize_blockILi128ELi1EXadL_ZL15dequantize_q1_0PKvliR15HIP_vector_typeIfLj2EEEEfEvS1_PT2_lllS2_IjLj3EElll: ; @_ZL16dequantize_blockILi128ELi1EXadL_ZL15dequantize_q1_0PKvliR15HIP_vector_typeIfLj2EEEEfEvS1_PT2_lllS2_IjLj3EElll
; %bb.0:
	s_clause 0x1
	s_load_b32 s12, s[0:1], 0x5c
	s_load_b128 s[4:7], s[0:1], 0x10
	s_bfe_u32 s2, ttmp6, 0x4000c
	s_and_b32 s3, ttmp6, 15
	s_add_co_i32 s2, s2, 1
	s_getreg_b32 s14, hwreg(HW_REG_IB_STS2, 6, 4)
	s_mul_i32 s2, ttmp9, s2
	v_mov_b32_e32 v1, 0
	s_add_co_i32 s3, s3, s2
	s_cmp_eq_u32 s14, 0
	s_cselect_b32 s13, ttmp9, s3
	s_mov_b32 s3, 0
	s_wait_kmcnt 0x0
	s_and_b32 s2, s12, 0xffff
	s_delay_alu instid0(SALU_CYCLE_1) | instskip(SKIP_1) | instid1(VALU_DEP_1)
	v_mad_nc_u64_u32 v[2:3], s2, s13, v[0:1]
	s_mov_b32 s2, exec_lo
	v_lshlrev_b64_e32 v[6:7], 1, v[2:3]
	s_delay_alu instid0(VALU_DEP_1)
	v_cmpx_gt_i64_e64 s[4:5], v[6:7]
	s_cbranch_execz .LBB55_7
; %bb.1:
	s_bfe_u32 s2, ttmp6, 0x40010
	s_load_b64 s[20:21], s[0:1], 0x20
	s_and_b32 s8, ttmp7, 0xffff
	s_add_co_i32 s2, s2, 1
	s_bfe_u32 s9, ttmp6, 0x40004
	s_mul_i32 s2, s8, s2
	s_delay_alu instid0(SALU_CYCLE_1) | instskip(SKIP_2) | instid1(SALU_CYCLE_1)
	s_add_co_i32 s9, s9, s2
	s_cmp_eq_u32 s14, 0
	s_cselect_b32 s2, s8, s9
	v_cmp_le_i64_e64 s8, s[6:7], s[2:3]
	s_and_b32 vcc_lo, exec_lo, s8
	s_cbranch_vccnz .LBB55_7
; %bb.2:
	s_bfe_u32 s15, ttmp6, 0x40014
	s_lshr_b32 s19, ttmp7, 16
	s_add_co_i32 s15, s15, 1
	v_lshrrev_b64 v[2:3], 6, v[2:3]
	s_mul_i32 s15, s19, s15
	s_bfe_u32 s24, ttmp6, 0x40008
	s_mul_i32 s13, s13, s12
	s_add_co_i32 s24, s24, s15
	s_cmp_eq_u32 s14, 0
	v_add_nc_u16 v0, s13, v0
	s_mov_b32 s25, 0
	s_cselect_b32 s24, s19, s24
	s_clause 0x1
	s_load_b128 s[8:11], s[0:1], 0x0
	s_load_b96 s[16:18], s[0:1], 0x28
	v_lshlrev_b64_e32 v[4:5], 9, v[2:3]
	s_add_nc_u64 s[22:23], s[0:1], 0x50
	s_mul_u64 s[12:13], s[6:7], s[24:25]
	s_load_b32 s26, s[22:23], 0x4
	s_add_nc_u64 s[12:13], s[12:13], s[2:3]
	v_dual_mov_b32 v1, 0 :: v_dual_bitop2_b32 v0, 63, v0 bitop3:0x40
	s_mul_u64 s[12:13], s[4:5], s[12:13]
	s_mov_b32 s27, s25
	v_lshl_add_u64 v[8:9], s[12:13], 2, v[4:5]
	s_clause 0x1
	s_load_b128 s[12:15], s[0:1], 0x38
	s_load_b64 s[28:29], s[0:1], 0x48
	v_dual_mov_b32 v11, v1 :: v_dual_lshlrev_b32 v10, 3, v0
	v_and_b32_e32 v4, 6, v6
	v_bfe_u32 v0, v6, 3, 4
	s_mul_u64 s[34:35], s[6:7], s[4:5]
	s_wait_xcnt 0x0
	s_mov_b64 s[0:1], s[24:25]
	v_add_nc_u64_e32 v[8:9], v[8:9], v[10:11]
	v_or_b32_e32 v5, 1, v4
	s_wait_kmcnt 0x0
	s_mov_b32 s30, s16
	v_cmp_gt_i64_e64 s16, s[20:21], s[24:25]
	s_mov_b32 s31, s25
	s_lshl_b64 s[34:35], s[34:35], 2
	s_sub_co_i32 s33, 0, s18
	v_add_nc_u64_e32 v[6:7], s[10:11], v[8:9]
	s_mul_u64 s[10:11], s[4:5], s[26:27]
	s_mov_b64 s[4:5], 0xffffffff
	s_lshl_b64 s[10:11], s[10:11], 2
	s_branch .LBB55_4
.LBB55_3:                               ;   in Loop: Header=BB55_4 Depth=1
	s_add_nc_u64 s[2:3], s[2:3], s[26:27]
	v_add_nc_u64_e32 v[6:7], s[10:11], v[6:7]
	v_cmp_ge_i64_e64 s18, s[2:3], s[6:7]
	s_and_b32 vcc_lo, exec_lo, s18
	s_cbranch_vccnz .LBB55_7
.LBB55_4:                               ; =>This Loop Header: Depth=1
                                        ;     Child Loop BB55_6 Depth 2
	s_and_not1_b32 vcc_lo, exec_lo, s16
	s_cbranch_vccnz .LBB55_3
; %bb.5:                                ;   in Loop: Header=BB55_4 Depth=1
	s_load_b32 s18, s[22:23], 0x8
	v_mov_b64_e32 v[8:9], v[6:7]
	s_mul_u64 s[36:37], s[2:3], s[12:13]
	s_mov_b32 s19, s25
	s_mul_u64 s[36:37], s[36:37], 18
	s_mov_b64 s[40:41], s[0:1]
	s_wait_kmcnt 0x0
	s_mul_u64 s[38:39], s[34:35], s[18:19]
.LBB55_6:                               ;   Parent Loop BB55_4 Depth=1
                                        ; =>  This Inner Loop Header: Depth=2
	s_and_b64 s[42:43], s[40:41], s[4:5]
	s_mov_b32 s45, s25
	s_mul_u64 s[42:43], s[30:31], s[42:43]
	s_delay_alu instid0(SALU_CYCLE_1) | instskip(NEXT) | instid1(SALU_CYCLE_1)
	s_add_co_i32 s24, s40, s43
	s_lshr_b32 s44, s24, s17
	s_delay_alu instid0(SALU_CYCLE_1)
	s_mul_i32 s24, s33, s44
	s_mul_u64 s[42:43], s[28:29], s[44:45]
	s_add_co_i32 s24, s40, s24
	s_mul_u64 s[42:43], s[42:43], 18
	s_mul_u64 s[44:45], s[14:15], s[24:25]
	s_add_nc_u64 s[42:43], s[8:9], s[42:43]
	s_mul_u64 s[44:45], s[44:45], 18
	s_add_nc_u64 s[40:41], s[40:41], s[18:19]
	s_add_nc_u64 s[42:43], s[42:43], s[44:45]
	v_cmp_ge_i64_e64 s24, s[40:41], s[20:21]
	s_add_nc_u64 s[42:43], s[42:43], s[36:37]
	s_delay_alu instid0(SALU_CYCLE_1) | instskip(SKIP_1) | instid1(VALU_DEP_1)
	v_mad_nc_u64_u32 v[10:11], v2, 18, s[42:43]
	s_and_b32 vcc_lo, exec_lo, s24
	v_mad_u32 v11, v3, 18, v11
	s_delay_alu instid0(VALU_DEP_1)
	v_add_nc_u64_e32 v[12:13], v[10:11], v[0:1]
	s_clause 0x1
	global_load_u16 v14, v[10:11], off
	global_load_u8 v15, v[12:13], off offset:2
	s_wait_loadcnt 0x0
	s_wait_xcnt 0x1
	v_dual_lshrrev_b32 v10, v5, v15 :: v_dual_lshrrev_b32 v11, v4, v15
	s_delay_alu instid0(VALU_DEP_1) | instskip(NEXT) | instid1(VALU_DEP_1)
	v_dual_lshlrev_b32 v10, 1, v10 :: v_dual_lshlrev_b32 v11, 1, v11
	v_and_b32_e32 v11, 2, v11
	s_delay_alu instid0(VALU_DEP_1) | instskip(SKIP_1) | instid1(VALU_DEP_1)
	v_dual_add_nc_u32 v11, -1, v11 :: v_dual_bitop2_b32 v10, 2, v10 bitop3:0x40
	s_wait_xcnt 0x0
	v_add_nc_u32_e32 v12, -1, v10
	v_cvt_f32_f16_e32 v10, v14
	s_delay_alu instid0(VALU_DEP_2) | instskip(SKIP_1) | instid1(VALU_DEP_1)
	v_cvt_f32_i32_e32 v13, v12
	v_cvt_f32_i32_e32 v12, v11
	v_pk_mul_f32 v[10:11], v[10:11], v[12:13] op_sel_hi:[0,1]
	global_store_b64 v[8:9], v[10:11], off
	s_wait_xcnt 0x0
	v_add_nc_u64_e32 v[8:9], s[38:39], v[8:9]
	s_cbranch_vccz .LBB55_6
	s_branch .LBB55_3
.LBB55_7:
	s_endpgm
	.section	.rodata,"a",@progbits
	.p2align	6, 0x0
	.amdhsa_kernel _ZL16dequantize_blockILi128ELi1EXadL_ZL15dequantize_q1_0PKvliR15HIP_vector_typeIfLj2EEEEfEvS1_PT2_lllS2_IjLj3EElll
		.amdhsa_group_segment_fixed_size 0
		.amdhsa_private_segment_fixed_size 0
		.amdhsa_kernarg_size 336
		.amdhsa_user_sgpr_count 2
		.amdhsa_user_sgpr_dispatch_ptr 0
		.amdhsa_user_sgpr_queue_ptr 0
		.amdhsa_user_sgpr_kernarg_segment_ptr 1
		.amdhsa_user_sgpr_dispatch_id 0
		.amdhsa_user_sgpr_kernarg_preload_length 0
		.amdhsa_user_sgpr_kernarg_preload_offset 0
		.amdhsa_user_sgpr_private_segment_size 0
		.amdhsa_wavefront_size32 1
		.amdhsa_uses_dynamic_stack 0
		.amdhsa_enable_private_segment 0
		.amdhsa_system_sgpr_workgroup_id_x 1
		.amdhsa_system_sgpr_workgroup_id_y 1
		.amdhsa_system_sgpr_workgroup_id_z 1
		.amdhsa_system_sgpr_workgroup_info 0
		.amdhsa_system_vgpr_workitem_id 0
		.amdhsa_next_free_vgpr 16
		.amdhsa_next_free_sgpr 46
		.amdhsa_named_barrier_count 0
		.amdhsa_reserve_vcc 1
		.amdhsa_float_round_mode_32 0
		.amdhsa_float_round_mode_16_64 0
		.amdhsa_float_denorm_mode_32 3
		.amdhsa_float_denorm_mode_16_64 3
		.amdhsa_fp16_overflow 0
		.amdhsa_memory_ordered 1
		.amdhsa_forward_progress 1
		.amdhsa_inst_pref_size 6
		.amdhsa_round_robin_scheduling 0
		.amdhsa_exception_fp_ieee_invalid_op 0
		.amdhsa_exception_fp_denorm_src 0
		.amdhsa_exception_fp_ieee_div_zero 0
		.amdhsa_exception_fp_ieee_overflow 0
		.amdhsa_exception_fp_ieee_underflow 0
		.amdhsa_exception_fp_ieee_inexact 0
		.amdhsa_exception_int_div_zero 0
	.end_amdhsa_kernel
	.section	.text._ZL16dequantize_blockILi128ELi1EXadL_ZL15dequantize_q1_0PKvliR15HIP_vector_typeIfLj2EEEEfEvS1_PT2_lllS2_IjLj3EElll,"axG",@progbits,_ZL16dequantize_blockILi128ELi1EXadL_ZL15dequantize_q1_0PKvliR15HIP_vector_typeIfLj2EEEEfEvS1_PT2_lllS2_IjLj3EElll,comdat
.Lfunc_end55:
	.size	_ZL16dequantize_blockILi128ELi1EXadL_ZL15dequantize_q1_0PKvliR15HIP_vector_typeIfLj2EEEEfEvS1_PT2_lllS2_IjLj3EElll, .Lfunc_end55-_ZL16dequantize_blockILi128ELi1EXadL_ZL15dequantize_q1_0PKvliR15HIP_vector_typeIfLj2EEEEfEvS1_PT2_lllS2_IjLj3EElll
                                        ; -- End function
	.set _ZL16dequantize_blockILi128ELi1EXadL_ZL15dequantize_q1_0PKvliR15HIP_vector_typeIfLj2EEEEfEvS1_PT2_lllS2_IjLj3EElll.num_vgpr, 16
	.set _ZL16dequantize_blockILi128ELi1EXadL_ZL15dequantize_q1_0PKvliR15HIP_vector_typeIfLj2EEEEfEvS1_PT2_lllS2_IjLj3EElll.num_agpr, 0
	.set _ZL16dequantize_blockILi128ELi1EXadL_ZL15dequantize_q1_0PKvliR15HIP_vector_typeIfLj2EEEEfEvS1_PT2_lllS2_IjLj3EElll.numbered_sgpr, 46
	.set _ZL16dequantize_blockILi128ELi1EXadL_ZL15dequantize_q1_0PKvliR15HIP_vector_typeIfLj2EEEEfEvS1_PT2_lllS2_IjLj3EElll.num_named_barrier, 0
	.set _ZL16dequantize_blockILi128ELi1EXadL_ZL15dequantize_q1_0PKvliR15HIP_vector_typeIfLj2EEEEfEvS1_PT2_lllS2_IjLj3EElll.private_seg_size, 0
	.set _ZL16dequantize_blockILi128ELi1EXadL_ZL15dequantize_q1_0PKvliR15HIP_vector_typeIfLj2EEEEfEvS1_PT2_lllS2_IjLj3EElll.uses_vcc, 1
	.set _ZL16dequantize_blockILi128ELi1EXadL_ZL15dequantize_q1_0PKvliR15HIP_vector_typeIfLj2EEEEfEvS1_PT2_lllS2_IjLj3EElll.uses_flat_scratch, 0
	.set _ZL16dequantize_blockILi128ELi1EXadL_ZL15dequantize_q1_0PKvliR15HIP_vector_typeIfLj2EEEEfEvS1_PT2_lllS2_IjLj3EElll.has_dyn_sized_stack, 0
	.set _ZL16dequantize_blockILi128ELi1EXadL_ZL15dequantize_q1_0PKvliR15HIP_vector_typeIfLj2EEEEfEvS1_PT2_lllS2_IjLj3EElll.has_recursion, 0
	.set _ZL16dequantize_blockILi128ELi1EXadL_ZL15dequantize_q1_0PKvliR15HIP_vector_typeIfLj2EEEEfEvS1_PT2_lllS2_IjLj3EElll.has_indirect_call, 0
	.section	.AMDGPU.csdata,"",@progbits
; Kernel info:
; codeLenInByte = 760
; TotalNumSgprs: 48
; NumVgprs: 16
; ScratchSize: 0
; MemoryBound: 0
; FloatMode: 240
; IeeeMode: 1
; LDSByteSize: 0 bytes/workgroup (compile time only)
; SGPRBlocks: 0
; VGPRBlocks: 0
; NumSGPRsForWavesPerEU: 48
; NumVGPRsForWavesPerEU: 16
; NamedBarCnt: 0
; Occupancy: 16
; WaveLimiterHint : 0
; COMPUTE_PGM_RSRC2:SCRATCH_EN: 0
; COMPUTE_PGM_RSRC2:USER_SGPR: 2
; COMPUTE_PGM_RSRC2:TRAP_HANDLER: 0
; COMPUTE_PGM_RSRC2:TGID_X_EN: 1
; COMPUTE_PGM_RSRC2:TGID_Y_EN: 1
; COMPUTE_PGM_RSRC2:TGID_Z_EN: 1
; COMPUTE_PGM_RSRC2:TIDIG_COMP_CNT: 0
	.section	.text._ZL16dequantize_blockILi32ELi2EXadL_ZL15dequantize_q4_0PKvliR15HIP_vector_typeIfLj2EEEEfEvS1_PT2_lllS2_IjLj3EElll,"axG",@progbits,_ZL16dequantize_blockILi32ELi2EXadL_ZL15dequantize_q4_0PKvliR15HIP_vector_typeIfLj2EEEEfEvS1_PT2_lllS2_IjLj3EElll,comdat
	.globl	_ZL16dequantize_blockILi32ELi2EXadL_ZL15dequantize_q4_0PKvliR15HIP_vector_typeIfLj2EEEEfEvS1_PT2_lllS2_IjLj3EElll ; -- Begin function _ZL16dequantize_blockILi32ELi2EXadL_ZL15dequantize_q4_0PKvliR15HIP_vector_typeIfLj2EEEEfEvS1_PT2_lllS2_IjLj3EElll
	.p2align	8
	.type	_ZL16dequantize_blockILi32ELi2EXadL_ZL15dequantize_q4_0PKvliR15HIP_vector_typeIfLj2EEEEfEvS1_PT2_lllS2_IjLj3EElll,@function
_ZL16dequantize_blockILi32ELi2EXadL_ZL15dequantize_q4_0PKvliR15HIP_vector_typeIfLj2EEEEfEvS1_PT2_lllS2_IjLj3EElll: ; @_ZL16dequantize_blockILi32ELi2EXadL_ZL15dequantize_q4_0PKvliR15HIP_vector_typeIfLj2EEEEfEvS1_PT2_lllS2_IjLj3EElll
; %bb.0:
	s_load_b32 s2, s[0:1], 0x5c
	s_bfe_u32 s3, ttmp6, 0x4000c
	s_and_b32 s4, ttmp6, 15
	s_add_co_i32 s3, s3, 1
	s_getreg_b32 s12, hwreg(HW_REG_IB_STS2, 6, 4)
	s_mul_i32 s3, ttmp9, s3
	v_mov_b32_e32 v1, 0
	s_add_co_i32 s3, s4, s3
	s_load_b128 s[4:7], s[0:1], 0x10
	s_wait_kmcnt 0x0
	s_and_b32 s2, s2, 0xffff
	s_cmp_eq_u32 s12, 0
	s_cselect_b32 s3, ttmp9, s3
	s_delay_alu instid0(SALU_CYCLE_1) | instskip(SKIP_2) | instid1(VALU_DEP_1)
	v_mad_nc_u64_u32 v[2:3], s2, s3, v[0:1]
	s_mov_b32 s3, 0
	s_mov_b32 s2, exec_lo
	v_lshlrev_b64_e32 v[0:1], 1, v[2:3]
	s_delay_alu instid0(VALU_DEP_1)
	v_cmpx_gt_i64_e64 s[4:5], v[0:1]
	s_cbranch_execz .LBB56_7
; %bb.1:
	s_bfe_u32 s2, ttmp6, 0x40010
	s_load_b64 s[20:21], s[0:1], 0x20
	s_and_b32 s8, ttmp7, 0xffff
	s_add_co_i32 s2, s2, 1
	s_bfe_u32 s9, ttmp6, 0x40004
	s_mul_i32 s2, s8, s2
	s_delay_alu instid0(SALU_CYCLE_1) | instskip(SKIP_2) | instid1(SALU_CYCLE_1)
	s_add_co_i32 s9, s9, s2
	s_cmp_eq_u32 s12, 0
	s_cselect_b32 s2, s8, s9
	v_cmp_le_i64_e64 s8, s[6:7], s[2:3]
	s_and_b32 vcc_lo, exec_lo, s8
	s_cbranch_vccnz .LBB56_7
; %bb.2:
	s_bfe_u32 s8, ttmp6, 0x40014
	s_lshr_b32 s13, ttmp7, 16
	s_add_co_i32 s8, s8, 1
	v_lshrrev_b64 v[0:1], 4, v[2:3]
	s_mul_i32 s14, s13, s8
	s_bfe_u32 s15, ttmp6, 0x40008
	s_mov_b32 s25, 0
	s_add_co_i32 s15, s15, s14
	s_cmp_eq_u32 s12, 0
	s_clause 0x1
	s_load_b128 s[8:11], s[0:1], 0x0
	s_load_b96 s[16:18], s[0:1], 0x28
	s_cselect_b32 s24, s13, s15
	v_lshlrev_b64_e32 v[4:5], 7, v[0:1]
	s_mul_u64 s[12:13], s[6:7], s[24:25]
	v_dual_mov_b32 v3, 0 :: v_dual_bitop2_b32 v2, 15, v2 bitop3:0x40
	s_add_nc_u64 s[12:13], s[12:13], s[2:3]
	s_add_nc_u64 s[22:23], s[0:1], 0x50
	s_mul_u64 s[12:13], s[4:5], s[12:13]
	s_delay_alu instid0(VALU_DEP_1)
	v_dual_mov_b32 v7, v3 :: v_dual_lshlrev_b32 v6, 2, v2
	v_lshl_add_u64 v[4:5], s[12:13], 2, v[4:5]
	s_load_b32 s26, s[22:23], 0x4
	s_clause 0x1
	s_load_b128 s[12:15], s[0:1], 0x38
	s_load_b64 s[28:29], s[0:1], 0x48
	s_mov_b32 s27, s25
	s_mul_u64 s[34:35], s[6:7], s[4:5]
	v_add_nc_u64_e32 v[4:5], v[4:5], v[6:7]
	s_wait_xcnt 0x0
	s_mov_b32 s1, s25
	s_lshl_b64 s[34:35], s[34:35], 2
	s_wait_kmcnt 0x0
	s_mov_b32 s0, s16
	v_cmp_gt_i64_e64 s16, s[20:21], s[24:25]
	s_sub_co_i32 s33, 0, s18
	v_add_nc_u64_e32 v[4:5], s[10:11], v[4:5]
	s_mov_b64 s[10:11], s[24:25]
	s_delay_alu instid0(VALU_DEP_1)
	v_add_nc_u64_e32 v[4:5], 64, v[4:5]
	s_mul_u64 s[30:31], s[4:5], s[26:27]
	s_mov_b64 s[4:5], 0xffffffff
	s_lshl_b64 s[30:31], s[30:31], 2
	s_branch .LBB56_4
.LBB56_3:                               ;   in Loop: Header=BB56_4 Depth=1
	s_add_nc_u64 s[2:3], s[2:3], s[26:27]
	v_add_nc_u64_e32 v[4:5], s[30:31], v[4:5]
	v_cmp_ge_i64_e64 s18, s[2:3], s[6:7]
	s_and_b32 vcc_lo, exec_lo, s18
	s_cbranch_vccnz .LBB56_7
.LBB56_4:                               ; =>This Loop Header: Depth=1
                                        ;     Child Loop BB56_6 Depth 2
	s_and_not1_b32 vcc_lo, exec_lo, s16
	s_cbranch_vccnz .LBB56_3
; %bb.5:                                ;   in Loop: Header=BB56_4 Depth=1
	s_load_b32 s18, s[22:23], 0x8
	v_mov_b64_e32 v[6:7], v[4:5]
	s_mul_u64 s[36:37], s[2:3], s[12:13]
	s_mov_b32 s19, s25
	s_mul_u64 s[36:37], s[36:37], 18
	s_mov_b64 s[40:41], s[10:11]
	s_wait_kmcnt 0x0
	s_mul_u64 s[38:39], s[34:35], s[18:19]
.LBB56_6:                               ;   Parent Loop BB56_4 Depth=1
                                        ; =>  This Inner Loop Header: Depth=2
	s_and_b64 s[42:43], s[40:41], s[4:5]
	s_mov_b32 s45, s25
	s_mul_u64 s[42:43], s[0:1], s[42:43]
	s_delay_alu instid0(SALU_CYCLE_1) | instskip(NEXT) | instid1(SALU_CYCLE_1)
	s_add_co_i32 s24, s40, s43
	s_lshr_b32 s44, s24, s17
	s_delay_alu instid0(SALU_CYCLE_1)
	s_mul_i32 s24, s33, s44
	s_mul_u64 s[42:43], s[28:29], s[44:45]
	s_add_co_i32 s24, s40, s24
	s_mul_u64 s[42:43], s[42:43], 18
	s_mul_u64 s[44:45], s[14:15], s[24:25]
	s_add_nc_u64 s[42:43], s[8:9], s[42:43]
	s_mul_u64 s[44:45], s[44:45], 18
	s_add_nc_u64 s[40:41], s[40:41], s[18:19]
	s_add_nc_u64 s[42:43], s[42:43], s[44:45]
	v_cmp_ge_i64_e64 s24, s[40:41], s[20:21]
	s_add_nc_u64 s[42:43], s[42:43], s[36:37]
	s_delay_alu instid0(SALU_CYCLE_1) | instskip(SKIP_1) | instid1(VALU_DEP_1)
	v_mad_nc_u64_u32 v[8:9], v0, 18, s[42:43]
	s_and_b32 vcc_lo, exec_lo, s24
	v_mad_u32 v9, v1, 18, v9
	s_delay_alu instid0(VALU_DEP_1)
	v_add_nc_u64_e32 v[10:11], v[8:9], v[2:3]
	s_clause 0x1
	global_load_u16 v12, v[8:9], off
	global_load_u8 v13, v[10:11], off offset:2
	s_wait_loadcnt 0x1
	s_wait_xcnt 0x0
	v_cvt_f32_f16_e32 v10, v12
	s_wait_loadcnt 0x0
	v_dual_lshrrev_b32 v9, 4, v13 :: v_dual_bitop2_b32 v8, 15, v13 bitop3:0x40
	s_delay_alu instid0(VALU_DEP_1) | instskip(NEXT) | instid1(VALU_DEP_1)
	v_dual_add_nc_u32 v8, -8, v8 :: v_dual_add_nc_u32 v9, -8, v9
	v_cvt_f32_i32_e32 v8, v8
	s_delay_alu instid0(VALU_DEP_2) | instskip(NEXT) | instid1(VALU_DEP_1)
	v_cvt_f32_i32_e32 v9, v9
	v_dual_mul_f32 v8, v10, v8 :: v_dual_mul_f32 v9, v10, v9
	s_clause 0x1
	global_store_b32 v[6:7], v8, off offset:-64
	global_store_b32 v[6:7], v9, off
	s_wait_xcnt 0x0
	v_add_nc_u64_e32 v[6:7], s[38:39], v[6:7]
	s_cbranch_vccz .LBB56_6
	s_branch .LBB56_3
.LBB56_7:
	s_endpgm
	.section	.rodata,"a",@progbits
	.p2align	6, 0x0
	.amdhsa_kernel _ZL16dequantize_blockILi32ELi2EXadL_ZL15dequantize_q4_0PKvliR15HIP_vector_typeIfLj2EEEEfEvS1_PT2_lllS2_IjLj3EElll
		.amdhsa_group_segment_fixed_size 0
		.amdhsa_private_segment_fixed_size 0
		.amdhsa_kernarg_size 336
		.amdhsa_user_sgpr_count 2
		.amdhsa_user_sgpr_dispatch_ptr 0
		.amdhsa_user_sgpr_queue_ptr 0
		.amdhsa_user_sgpr_kernarg_segment_ptr 1
		.amdhsa_user_sgpr_dispatch_id 0
		.amdhsa_user_sgpr_kernarg_preload_length 0
		.amdhsa_user_sgpr_kernarg_preload_offset 0
		.amdhsa_user_sgpr_private_segment_size 0
		.amdhsa_wavefront_size32 1
		.amdhsa_uses_dynamic_stack 0
		.amdhsa_enable_private_segment 0
		.amdhsa_system_sgpr_workgroup_id_x 1
		.amdhsa_system_sgpr_workgroup_id_y 1
		.amdhsa_system_sgpr_workgroup_id_z 1
		.amdhsa_system_sgpr_workgroup_info 0
		.amdhsa_system_vgpr_workitem_id 0
		.amdhsa_next_free_vgpr 14
		.amdhsa_next_free_sgpr 46
		.amdhsa_named_barrier_count 0
		.amdhsa_reserve_vcc 1
		.amdhsa_float_round_mode_32 0
		.amdhsa_float_round_mode_16_64 0
		.amdhsa_float_denorm_mode_32 3
		.amdhsa_float_denorm_mode_16_64 3
		.amdhsa_fp16_overflow 0
		.amdhsa_memory_ordered 1
		.amdhsa_forward_progress 1
		.amdhsa_inst_pref_size 6
		.amdhsa_round_robin_scheduling 0
		.amdhsa_exception_fp_ieee_invalid_op 0
		.amdhsa_exception_fp_denorm_src 0
		.amdhsa_exception_fp_ieee_div_zero 0
		.amdhsa_exception_fp_ieee_overflow 0
		.amdhsa_exception_fp_ieee_underflow 0
		.amdhsa_exception_fp_ieee_inexact 0
		.amdhsa_exception_int_div_zero 0
	.end_amdhsa_kernel
	.section	.text._ZL16dequantize_blockILi32ELi2EXadL_ZL15dequantize_q4_0PKvliR15HIP_vector_typeIfLj2EEEEfEvS1_PT2_lllS2_IjLj3EElll,"axG",@progbits,_ZL16dequantize_blockILi32ELi2EXadL_ZL15dequantize_q4_0PKvliR15HIP_vector_typeIfLj2EEEEfEvS1_PT2_lllS2_IjLj3EElll,comdat
.Lfunc_end56:
	.size	_ZL16dequantize_blockILi32ELi2EXadL_ZL15dequantize_q4_0PKvliR15HIP_vector_typeIfLj2EEEEfEvS1_PT2_lllS2_IjLj3EElll, .Lfunc_end56-_ZL16dequantize_blockILi32ELi2EXadL_ZL15dequantize_q4_0PKvliR15HIP_vector_typeIfLj2EEEEfEvS1_PT2_lllS2_IjLj3EElll
                                        ; -- End function
	.set _ZL16dequantize_blockILi32ELi2EXadL_ZL15dequantize_q4_0PKvliR15HIP_vector_typeIfLj2EEEEfEvS1_PT2_lllS2_IjLj3EElll.num_vgpr, 14
	.set _ZL16dequantize_blockILi32ELi2EXadL_ZL15dequantize_q4_0PKvliR15HIP_vector_typeIfLj2EEEEfEvS1_PT2_lllS2_IjLj3EElll.num_agpr, 0
	.set _ZL16dequantize_blockILi32ELi2EXadL_ZL15dequantize_q4_0PKvliR15HIP_vector_typeIfLj2EEEEfEvS1_PT2_lllS2_IjLj3EElll.numbered_sgpr, 46
	.set _ZL16dequantize_blockILi32ELi2EXadL_ZL15dequantize_q4_0PKvliR15HIP_vector_typeIfLj2EEEEfEvS1_PT2_lllS2_IjLj3EElll.num_named_barrier, 0
	.set _ZL16dequantize_blockILi32ELi2EXadL_ZL15dequantize_q4_0PKvliR15HIP_vector_typeIfLj2EEEEfEvS1_PT2_lllS2_IjLj3EElll.private_seg_size, 0
	.set _ZL16dequantize_blockILi32ELi2EXadL_ZL15dequantize_q4_0PKvliR15HIP_vector_typeIfLj2EEEEfEvS1_PT2_lllS2_IjLj3EElll.uses_vcc, 1
	.set _ZL16dequantize_blockILi32ELi2EXadL_ZL15dequantize_q4_0PKvliR15HIP_vector_typeIfLj2EEEEfEvS1_PT2_lllS2_IjLj3EElll.uses_flat_scratch, 0
	.set _ZL16dequantize_blockILi32ELi2EXadL_ZL15dequantize_q4_0PKvliR15HIP_vector_typeIfLj2EEEEfEvS1_PT2_lllS2_IjLj3EElll.has_dyn_sized_stack, 0
	.set _ZL16dequantize_blockILi32ELi2EXadL_ZL15dequantize_q4_0PKvliR15HIP_vector_typeIfLj2EEEEfEvS1_PT2_lllS2_IjLj3EElll.has_recursion, 0
	.set _ZL16dequantize_blockILi32ELi2EXadL_ZL15dequantize_q4_0PKvliR15HIP_vector_typeIfLj2EEEEfEvS1_PT2_lllS2_IjLj3EElll.has_indirect_call, 0
	.section	.AMDGPU.csdata,"",@progbits
; Kernel info:
; codeLenInByte = 732
; TotalNumSgprs: 48
; NumVgprs: 14
; ScratchSize: 0
; MemoryBound: 0
; FloatMode: 240
; IeeeMode: 1
; LDSByteSize: 0 bytes/workgroup (compile time only)
; SGPRBlocks: 0
; VGPRBlocks: 0
; NumSGPRsForWavesPerEU: 48
; NumVGPRsForWavesPerEU: 14
; NamedBarCnt: 0
; Occupancy: 16
; WaveLimiterHint : 0
; COMPUTE_PGM_RSRC2:SCRATCH_EN: 0
; COMPUTE_PGM_RSRC2:USER_SGPR: 2
; COMPUTE_PGM_RSRC2:TRAP_HANDLER: 0
; COMPUTE_PGM_RSRC2:TGID_X_EN: 1
; COMPUTE_PGM_RSRC2:TGID_Y_EN: 1
; COMPUTE_PGM_RSRC2:TGID_Z_EN: 1
; COMPUTE_PGM_RSRC2:TIDIG_COMP_CNT: 0
	.section	.text._ZL16dequantize_blockILi32ELi2EXadL_ZL15dequantize_q4_1PKvliR15HIP_vector_typeIfLj2EEEEfEvS1_PT2_lllS2_IjLj3EElll,"axG",@progbits,_ZL16dequantize_blockILi32ELi2EXadL_ZL15dequantize_q4_1PKvliR15HIP_vector_typeIfLj2EEEEfEvS1_PT2_lllS2_IjLj3EElll,comdat
	.globl	_ZL16dequantize_blockILi32ELi2EXadL_ZL15dequantize_q4_1PKvliR15HIP_vector_typeIfLj2EEEEfEvS1_PT2_lllS2_IjLj3EElll ; -- Begin function _ZL16dequantize_blockILi32ELi2EXadL_ZL15dequantize_q4_1PKvliR15HIP_vector_typeIfLj2EEEEfEvS1_PT2_lllS2_IjLj3EElll
	.p2align	8
	.type	_ZL16dequantize_blockILi32ELi2EXadL_ZL15dequantize_q4_1PKvliR15HIP_vector_typeIfLj2EEEEfEvS1_PT2_lllS2_IjLj3EElll,@function
_ZL16dequantize_blockILi32ELi2EXadL_ZL15dequantize_q4_1PKvliR15HIP_vector_typeIfLj2EEEEfEvS1_PT2_lllS2_IjLj3EElll: ; @_ZL16dequantize_blockILi32ELi2EXadL_ZL15dequantize_q4_1PKvliR15HIP_vector_typeIfLj2EEEEfEvS1_PT2_lllS2_IjLj3EElll
; %bb.0:
	s_load_b32 s2, s[0:1], 0x5c
	s_bfe_u32 s3, ttmp6, 0x4000c
	s_and_b32 s4, ttmp6, 15
	s_add_co_i32 s3, s3, 1
	s_getreg_b32 s12, hwreg(HW_REG_IB_STS2, 6, 4)
	s_mul_i32 s3, ttmp9, s3
	v_mov_b32_e32 v1, 0
	s_add_co_i32 s3, s4, s3
	s_load_b128 s[4:7], s[0:1], 0x10
	s_wait_kmcnt 0x0
	s_and_b32 s2, s2, 0xffff
	s_cmp_eq_u32 s12, 0
	s_cselect_b32 s3, ttmp9, s3
	s_delay_alu instid0(SALU_CYCLE_1) | instskip(SKIP_2) | instid1(VALU_DEP_1)
	v_mad_nc_u64_u32 v[2:3], s2, s3, v[0:1]
	s_mov_b32 s3, 0
	s_mov_b32 s2, exec_lo
	v_lshlrev_b64_e32 v[0:1], 1, v[2:3]
	s_delay_alu instid0(VALU_DEP_1)
	v_cmpx_gt_i64_e64 s[4:5], v[0:1]
	s_cbranch_execz .LBB57_7
; %bb.1:
	s_bfe_u32 s2, ttmp6, 0x40010
	s_load_b64 s[20:21], s[0:1], 0x20
	s_and_b32 s8, ttmp7, 0xffff
	s_add_co_i32 s2, s2, 1
	s_bfe_u32 s9, ttmp6, 0x40004
	s_mul_i32 s2, s8, s2
	s_delay_alu instid0(SALU_CYCLE_1) | instskip(SKIP_2) | instid1(SALU_CYCLE_1)
	s_add_co_i32 s9, s9, s2
	s_cmp_eq_u32 s12, 0
	s_cselect_b32 s2, s8, s9
	v_cmp_le_i64_e64 s8, s[6:7], s[2:3]
	s_and_b32 vcc_lo, exec_lo, s8
	s_cbranch_vccnz .LBB57_7
; %bb.2:
	s_bfe_u32 s8, ttmp6, 0x40014
	s_lshr_b32 s13, ttmp7, 16
	s_add_co_i32 s8, s8, 1
	v_lshrrev_b64 v[0:1], 4, v[2:3]
	s_mul_i32 s14, s13, s8
	s_bfe_u32 s15, ttmp6, 0x40008
	s_mov_b32 s25, 0
	s_add_co_i32 s15, s15, s14
	s_cmp_eq_u32 s12, 0
	s_clause 0x1
	s_load_b128 s[8:11], s[0:1], 0x0
	s_load_b96 s[16:18], s[0:1], 0x28
	s_cselect_b32 s24, s13, s15
	v_lshlrev_b64_e32 v[4:5], 7, v[0:1]
	s_mul_u64 s[12:13], s[6:7], s[24:25]
	v_dual_mov_b32 v3, 0 :: v_dual_bitop2_b32 v2, 15, v2 bitop3:0x40
	s_add_nc_u64 s[12:13], s[12:13], s[2:3]
	s_add_nc_u64 s[22:23], s[0:1], 0x50
	s_mul_u64 s[12:13], s[4:5], s[12:13]
	s_delay_alu instid0(VALU_DEP_1)
	v_dual_mov_b32 v7, v3 :: v_dual_lshlrev_b32 v6, 2, v2
	v_lshl_add_u64 v[4:5], s[12:13], 2, v[4:5]
	s_load_b32 s26, s[22:23], 0x4
	s_clause 0x1
	s_load_b128 s[12:15], s[0:1], 0x38
	s_load_b64 s[28:29], s[0:1], 0x48
	s_mov_b32 s27, s25
	s_mul_u64 s[34:35], s[6:7], s[4:5]
	v_add_nc_u64_e32 v[4:5], v[4:5], v[6:7]
	s_wait_xcnt 0x0
	s_mov_b32 s1, s25
	s_lshl_b64 s[34:35], s[34:35], 2
	s_wait_kmcnt 0x0
	s_mov_b32 s0, s16
	v_cmp_gt_i64_e64 s16, s[20:21], s[24:25]
	s_sub_co_i32 s33, 0, s18
	v_add_nc_u64_e32 v[4:5], s[10:11], v[4:5]
	s_mov_b64 s[10:11], s[24:25]
	s_delay_alu instid0(VALU_DEP_1)
	v_add_nc_u64_e32 v[4:5], 64, v[4:5]
	s_mul_u64 s[30:31], s[4:5], s[26:27]
	s_mov_b64 s[4:5], 0xffffffff
	s_lshl_b64 s[30:31], s[30:31], 2
	s_branch .LBB57_4
.LBB57_3:                               ;   in Loop: Header=BB57_4 Depth=1
	s_add_nc_u64 s[2:3], s[2:3], s[26:27]
	v_add_nc_u64_e32 v[4:5], s[30:31], v[4:5]
	v_cmp_ge_i64_e64 s18, s[2:3], s[6:7]
	s_and_b32 vcc_lo, exec_lo, s18
	s_cbranch_vccnz .LBB57_7
.LBB57_4:                               ; =>This Loop Header: Depth=1
                                        ;     Child Loop BB57_6 Depth 2
	s_and_not1_b32 vcc_lo, exec_lo, s16
	s_cbranch_vccnz .LBB57_3
; %bb.5:                                ;   in Loop: Header=BB57_4 Depth=1
	s_load_b32 s18, s[22:23], 0x8
	v_mov_b64_e32 v[6:7], v[4:5]
	s_mul_u64 s[36:37], s[2:3], s[12:13]
	s_mov_b32 s19, s25
	s_mul_u64 s[36:37], s[36:37], 20
	s_mov_b64 s[40:41], s[10:11]
	s_wait_kmcnt 0x0
	s_mul_u64 s[38:39], s[34:35], s[18:19]
.LBB57_6:                               ;   Parent Loop BB57_4 Depth=1
                                        ; =>  This Inner Loop Header: Depth=2
	s_and_b64 s[42:43], s[40:41], s[4:5]
	s_mov_b32 s45, s25
	s_mul_u64 s[42:43], s[0:1], s[42:43]
	s_delay_alu instid0(SALU_CYCLE_1) | instskip(NEXT) | instid1(SALU_CYCLE_1)
	s_add_co_i32 s24, s40, s43
	s_lshr_b32 s44, s24, s17
	s_delay_alu instid0(SALU_CYCLE_1)
	s_mul_i32 s24, s33, s44
	s_mul_u64 s[42:43], s[28:29], s[44:45]
	s_add_co_i32 s24, s40, s24
	s_mul_u64 s[42:43], s[42:43], 20
	s_mul_u64 s[44:45], s[14:15], s[24:25]
	s_add_nc_u64 s[42:43], s[8:9], s[42:43]
	s_mul_u64 s[44:45], s[44:45], 20
	s_add_nc_u64 s[40:41], s[40:41], s[18:19]
	s_add_nc_u64 s[42:43], s[42:43], s[44:45]
	v_cmp_ge_i64_e64 s24, s[40:41], s[20:21]
	s_add_nc_u64 s[42:43], s[42:43], s[36:37]
	s_delay_alu instid0(SALU_CYCLE_1) | instskip(SKIP_1) | instid1(VALU_DEP_1)
	v_mad_nc_u64_u32 v[8:9], v0, 20, s[42:43]
	s_and_b32 vcc_lo, exec_lo, s24
	v_mad_u32 v9, v1, 20, v9
	s_delay_alu instid0(VALU_DEP_1)
	v_add_nc_u64_e32 v[10:11], v[8:9], v[2:3]
	s_clause 0x1
	global_load_b32 v12, v[8:9], off
	global_load_u8 v13, v[10:11], off offset:4
	s_wait_loadcnt 0x0
	s_wait_xcnt 0x1
	v_dual_lshrrev_b32 v9, 4, v13 :: v_dual_bitop2_b32 v8, 15, v13 bitop3:0x40
	s_delay_alu instid0(VALU_DEP_1) | instskip(NEXT) | instid1(VALU_DEP_2)
	v_cvt_f32_ubyte0_e32 v8, v8
	v_cvt_f32_ubyte0_e32 v9, v9
	s_delay_alu instid0(VALU_DEP_2) | instskip(NEXT) | instid1(VALU_DEP_2)
	v_fma_mix_f32 v8, v12, v8, v12 op_sel:[0,0,1] op_sel_hi:[1,0,1]
	v_fma_mix_f32 v9, v12, v9, v12 op_sel:[0,0,1] op_sel_hi:[1,0,1]
	s_clause 0x1
	global_store_b32 v[6:7], v8, off offset:-64
	global_store_b32 v[6:7], v9, off
	s_wait_xcnt 0x0
	v_add_nc_u64_e32 v[6:7], s[38:39], v[6:7]
	s_cbranch_vccz .LBB57_6
	s_branch .LBB57_3
.LBB57_7:
	s_endpgm
	.section	.rodata,"a",@progbits
	.p2align	6, 0x0
	.amdhsa_kernel _ZL16dequantize_blockILi32ELi2EXadL_ZL15dequantize_q4_1PKvliR15HIP_vector_typeIfLj2EEEEfEvS1_PT2_lllS2_IjLj3EElll
		.amdhsa_group_segment_fixed_size 0
		.amdhsa_private_segment_fixed_size 0
		.amdhsa_kernarg_size 336
		.amdhsa_user_sgpr_count 2
		.amdhsa_user_sgpr_dispatch_ptr 0
		.amdhsa_user_sgpr_queue_ptr 0
		.amdhsa_user_sgpr_kernarg_segment_ptr 1
		.amdhsa_user_sgpr_dispatch_id 0
		.amdhsa_user_sgpr_kernarg_preload_length 0
		.amdhsa_user_sgpr_kernarg_preload_offset 0
		.amdhsa_user_sgpr_private_segment_size 0
		.amdhsa_wavefront_size32 1
		.amdhsa_uses_dynamic_stack 0
		.amdhsa_enable_private_segment 0
		.amdhsa_system_sgpr_workgroup_id_x 1
		.amdhsa_system_sgpr_workgroup_id_y 1
		.amdhsa_system_sgpr_workgroup_id_z 1
		.amdhsa_system_sgpr_workgroup_info 0
		.amdhsa_system_vgpr_workitem_id 0
		.amdhsa_next_free_vgpr 14
		.amdhsa_next_free_sgpr 46
		.amdhsa_named_barrier_count 0
		.amdhsa_reserve_vcc 1
		.amdhsa_float_round_mode_32 0
		.amdhsa_float_round_mode_16_64 0
		.amdhsa_float_denorm_mode_32 3
		.amdhsa_float_denorm_mode_16_64 3
		.amdhsa_fp16_overflow 0
		.amdhsa_memory_ordered 1
		.amdhsa_forward_progress 1
		.amdhsa_inst_pref_size 6
		.amdhsa_round_robin_scheduling 0
		.amdhsa_exception_fp_ieee_invalid_op 0
		.amdhsa_exception_fp_denorm_src 0
		.amdhsa_exception_fp_ieee_div_zero 0
		.amdhsa_exception_fp_ieee_overflow 0
		.amdhsa_exception_fp_ieee_underflow 0
		.amdhsa_exception_fp_ieee_inexact 0
		.amdhsa_exception_int_div_zero 0
	.end_amdhsa_kernel
	.section	.text._ZL16dequantize_blockILi32ELi2EXadL_ZL15dequantize_q4_1PKvliR15HIP_vector_typeIfLj2EEEEfEvS1_PT2_lllS2_IjLj3EElll,"axG",@progbits,_ZL16dequantize_blockILi32ELi2EXadL_ZL15dequantize_q4_1PKvliR15HIP_vector_typeIfLj2EEEEfEvS1_PT2_lllS2_IjLj3EElll,comdat
.Lfunc_end57:
	.size	_ZL16dequantize_blockILi32ELi2EXadL_ZL15dequantize_q4_1PKvliR15HIP_vector_typeIfLj2EEEEfEvS1_PT2_lllS2_IjLj3EElll, .Lfunc_end57-_ZL16dequantize_blockILi32ELi2EXadL_ZL15dequantize_q4_1PKvliR15HIP_vector_typeIfLj2EEEEfEvS1_PT2_lllS2_IjLj3EElll
                                        ; -- End function
	.set _ZL16dequantize_blockILi32ELi2EXadL_ZL15dequantize_q4_1PKvliR15HIP_vector_typeIfLj2EEEEfEvS1_PT2_lllS2_IjLj3EElll.num_vgpr, 14
	.set _ZL16dequantize_blockILi32ELi2EXadL_ZL15dequantize_q4_1PKvliR15HIP_vector_typeIfLj2EEEEfEvS1_PT2_lllS2_IjLj3EElll.num_agpr, 0
	.set _ZL16dequantize_blockILi32ELi2EXadL_ZL15dequantize_q4_1PKvliR15HIP_vector_typeIfLj2EEEEfEvS1_PT2_lllS2_IjLj3EElll.numbered_sgpr, 46
	.set _ZL16dequantize_blockILi32ELi2EXadL_ZL15dequantize_q4_1PKvliR15HIP_vector_typeIfLj2EEEEfEvS1_PT2_lllS2_IjLj3EElll.num_named_barrier, 0
	.set _ZL16dequantize_blockILi32ELi2EXadL_ZL15dequantize_q4_1PKvliR15HIP_vector_typeIfLj2EEEEfEvS1_PT2_lllS2_IjLj3EElll.private_seg_size, 0
	.set _ZL16dequantize_blockILi32ELi2EXadL_ZL15dequantize_q4_1PKvliR15HIP_vector_typeIfLj2EEEEfEvS1_PT2_lllS2_IjLj3EElll.uses_vcc, 1
	.set _ZL16dequantize_blockILi32ELi2EXadL_ZL15dequantize_q4_1PKvliR15HIP_vector_typeIfLj2EEEEfEvS1_PT2_lllS2_IjLj3EElll.uses_flat_scratch, 0
	.set _ZL16dequantize_blockILi32ELi2EXadL_ZL15dequantize_q4_1PKvliR15HIP_vector_typeIfLj2EEEEfEvS1_PT2_lllS2_IjLj3EElll.has_dyn_sized_stack, 0
	.set _ZL16dequantize_blockILi32ELi2EXadL_ZL15dequantize_q4_1PKvliR15HIP_vector_typeIfLj2EEEEfEvS1_PT2_lllS2_IjLj3EElll.has_recursion, 0
	.set _ZL16dequantize_blockILi32ELi2EXadL_ZL15dequantize_q4_1PKvliR15HIP_vector_typeIfLj2EEEEfEvS1_PT2_lllS2_IjLj3EElll.has_indirect_call, 0
	.section	.AMDGPU.csdata,"",@progbits
; Kernel info:
; codeLenInByte = 720
; TotalNumSgprs: 48
; NumVgprs: 14
; ScratchSize: 0
; MemoryBound: 0
; FloatMode: 240
; IeeeMode: 1
; LDSByteSize: 0 bytes/workgroup (compile time only)
; SGPRBlocks: 0
; VGPRBlocks: 0
; NumSGPRsForWavesPerEU: 48
; NumVGPRsForWavesPerEU: 14
; NamedBarCnt: 0
; Occupancy: 16
; WaveLimiterHint : 0
; COMPUTE_PGM_RSRC2:SCRATCH_EN: 0
; COMPUTE_PGM_RSRC2:USER_SGPR: 2
; COMPUTE_PGM_RSRC2:TRAP_HANDLER: 0
; COMPUTE_PGM_RSRC2:TGID_X_EN: 1
; COMPUTE_PGM_RSRC2:TGID_Y_EN: 1
; COMPUTE_PGM_RSRC2:TGID_Z_EN: 1
; COMPUTE_PGM_RSRC2:TIDIG_COMP_CNT: 0
	.section	.text._ZL16dequantize_blockILi32ELi2EXadL_ZL15dequantize_q5_0PKvliR15HIP_vector_typeIfLj2EEEEfEvS1_PT2_lllS2_IjLj3EElll,"axG",@progbits,_ZL16dequantize_blockILi32ELi2EXadL_ZL15dequantize_q5_0PKvliR15HIP_vector_typeIfLj2EEEEfEvS1_PT2_lllS2_IjLj3EElll,comdat
	.globl	_ZL16dequantize_blockILi32ELi2EXadL_ZL15dequantize_q5_0PKvliR15HIP_vector_typeIfLj2EEEEfEvS1_PT2_lllS2_IjLj3EElll ; -- Begin function _ZL16dequantize_blockILi32ELi2EXadL_ZL15dequantize_q5_0PKvliR15HIP_vector_typeIfLj2EEEEfEvS1_PT2_lllS2_IjLj3EElll
	.p2align	8
	.type	_ZL16dequantize_blockILi32ELi2EXadL_ZL15dequantize_q5_0PKvliR15HIP_vector_typeIfLj2EEEEfEvS1_PT2_lllS2_IjLj3EElll,@function
_ZL16dequantize_blockILi32ELi2EXadL_ZL15dequantize_q5_0PKvliR15HIP_vector_typeIfLj2EEEEfEvS1_PT2_lllS2_IjLj3EElll: ; @_ZL16dequantize_blockILi32ELi2EXadL_ZL15dequantize_q5_0PKvliR15HIP_vector_typeIfLj2EEEEfEvS1_PT2_lllS2_IjLj3EElll
; %bb.0:
	s_load_b32 s2, s[0:1], 0x5c
	s_bfe_u32 s3, ttmp6, 0x4000c
	s_and_b32 s4, ttmp6, 15
	s_add_co_i32 s3, s3, 1
	s_getreg_b32 s12, hwreg(HW_REG_IB_STS2, 6, 4)
	s_mul_i32 s3, ttmp9, s3
	v_mov_b32_e32 v1, 0
	s_add_co_i32 s3, s4, s3
	s_load_b128 s[4:7], s[0:1], 0x10
	s_wait_kmcnt 0x0
	s_and_b32 s2, s2, 0xffff
	s_cmp_eq_u32 s12, 0
	s_cselect_b32 s3, ttmp9, s3
	s_delay_alu instid0(SALU_CYCLE_1) | instskip(SKIP_2) | instid1(VALU_DEP_1)
	v_mad_nc_u64_u32 v[2:3], s2, s3, v[0:1]
	s_mov_b32 s3, 0
	s_mov_b32 s2, exec_lo
	v_lshlrev_b64_e32 v[0:1], 1, v[2:3]
	s_delay_alu instid0(VALU_DEP_1)
	v_cmpx_gt_i64_e64 s[4:5], v[0:1]
	s_cbranch_execz .LBB58_7
; %bb.1:
	s_bfe_u32 s2, ttmp6, 0x40010
	s_load_b64 s[20:21], s[0:1], 0x20
	s_and_b32 s8, ttmp7, 0xffff
	s_add_co_i32 s2, s2, 1
	s_bfe_u32 s9, ttmp6, 0x40004
	s_mul_i32 s2, s8, s2
	s_delay_alu instid0(SALU_CYCLE_1) | instskip(SKIP_2) | instid1(SALU_CYCLE_1)
	s_add_co_i32 s9, s9, s2
	s_cmp_eq_u32 s12, 0
	s_cselect_b32 s2, s8, s9
	v_cmp_le_i64_e64 s8, s[6:7], s[2:3]
	s_and_b32 vcc_lo, exec_lo, s8
	s_cbranch_vccnz .LBB58_7
; %bb.2:
	s_bfe_u32 s8, ttmp6, 0x40014
	s_lshr_b32 s13, ttmp7, 16
	s_add_co_i32 s8, s8, 1
	v_lshrrev_b64 v[0:1], 4, v[2:3]
	s_mul_i32 s14, s13, s8
	s_bfe_u32 s15, ttmp6, 0x40008
	s_mov_b32 s25, 0
	s_add_co_i32 s15, s15, s14
	s_cmp_eq_u32 s12, 0
	s_clause 0x1
	s_load_b128 s[8:11], s[0:1], 0x0
	s_load_b96 s[16:18], s[0:1], 0x28
	s_cselect_b32 s24, s13, s15
	v_lshlrev_b64_e32 v[4:5], 7, v[0:1]
	s_mul_u64 s[12:13], s[6:7], s[24:25]
	v_dual_mov_b32 v3, 0 :: v_dual_bitop2_b32 v2, 15, v2 bitop3:0x40
	s_add_nc_u64 s[12:13], s[12:13], s[2:3]
	s_add_nc_u64 s[22:23], s[0:1], 0x50
	s_mul_u64 s[12:13], s[4:5], s[12:13]
	s_delay_alu instid0(VALU_DEP_1)
	v_dual_mov_b32 v7, v3 :: v_dual_lshlrev_b32 v6, 2, v2
	v_lshl_add_u64 v[4:5], s[12:13], 2, v[4:5]
	s_load_b32 s26, s[22:23], 0x4
	s_clause 0x1
	s_load_b128 s[12:15], s[0:1], 0x38
	s_load_b64 s[28:29], s[0:1], 0x48
	s_mov_b32 s27, s25
	v_add_nc_u32_e32 v8, 12, v2
	v_add_nc_u64_e32 v[4:5], v[4:5], v[6:7]
	s_mul_u64 s[34:35], s[6:7], s[4:5]
	s_wait_xcnt 0x0
	s_mov_b32 s1, s25
	s_lshl_b64 s[34:35], s[34:35], 2
	s_wait_kmcnt 0x0
	s_mov_b32 s0, s16
	v_cmp_gt_i64_e64 s16, s[20:21], s[24:25]
	s_sub_co_i32 s33, 0, s18
	v_add_nc_u64_e32 v[4:5], s[10:11], v[4:5]
	s_mov_b64 s[10:11], s[24:25]
	s_delay_alu instid0(VALU_DEP_1)
	v_add_nc_u64_e32 v[4:5], 64, v[4:5]
	s_mul_u64 s[30:31], s[4:5], s[26:27]
	s_mov_b64 s[4:5], 0xffffffff
	s_lshl_b64 s[30:31], s[30:31], 2
	s_branch .LBB58_4
.LBB58_3:                               ;   in Loop: Header=BB58_4 Depth=1
	s_add_nc_u64 s[2:3], s[2:3], s[26:27]
	v_add_nc_u64_e32 v[4:5], s[30:31], v[4:5]
	v_cmp_ge_i64_e64 s18, s[2:3], s[6:7]
	s_and_b32 vcc_lo, exec_lo, s18
	s_cbranch_vccnz .LBB58_7
.LBB58_4:                               ; =>This Loop Header: Depth=1
                                        ;     Child Loop BB58_6 Depth 2
	s_and_not1_b32 vcc_lo, exec_lo, s16
	s_cbranch_vccnz .LBB58_3
; %bb.5:                                ;   in Loop: Header=BB58_4 Depth=1
	s_load_b32 s18, s[22:23], 0x8
	v_mov_b64_e32 v[6:7], v[4:5]
	s_mul_u64 s[36:37], s[2:3], s[12:13]
	s_mov_b32 s19, s25
	s_mul_u64 s[36:37], s[36:37], 22
	s_mov_b64 s[40:41], s[10:11]
	s_wait_kmcnt 0x0
	s_mul_u64 s[38:39], s[34:35], s[18:19]
.LBB58_6:                               ;   Parent Loop BB58_4 Depth=1
                                        ; =>  This Inner Loop Header: Depth=2
	s_and_b64 s[42:43], s[40:41], s[4:5]
	s_mov_b32 s45, s25
	s_mul_u64 s[42:43], s[0:1], s[42:43]
	s_delay_alu instid0(SALU_CYCLE_1) | instskip(NEXT) | instid1(SALU_CYCLE_1)
	s_add_co_i32 s24, s40, s43
	s_lshr_b32 s44, s24, s17
	s_delay_alu instid0(SALU_CYCLE_1)
	s_mul_i32 s24, s33, s44
	s_mul_u64 s[42:43], s[28:29], s[44:45]
	s_add_co_i32 s24, s40, s24
	s_mul_u64 s[42:43], s[42:43], 22
	s_mul_u64 s[44:45], s[14:15], s[24:25]
	s_add_nc_u64 s[42:43], s[8:9], s[42:43]
	s_mul_u64 s[44:45], s[44:45], 22
	s_add_nc_u64 s[40:41], s[40:41], s[18:19]
	s_add_nc_u64 s[42:43], s[42:43], s[44:45]
	v_cmp_ge_i64_e64 s24, s[40:41], s[20:21]
	s_add_nc_u64 s[42:43], s[42:43], s[36:37]
	s_delay_alu instid0(SALU_CYCLE_1) | instskip(SKIP_1) | instid1(VALU_DEP_1)
	v_mad_nc_u64_u32 v[10:11], v0, 22, s[42:43]
	s_and_b32 vcc_lo, exec_lo, s24
	v_mad_u32 v11, v1, 22, v11
	s_delay_alu instid0(VALU_DEP_1)
	v_add_nc_u64_e32 v[12:13], v[10:11], v[2:3]
	s_clause 0x2
	global_load_b32 v9, v[10:11], off
	global_load_u16 v14, v[10:11], off offset:4
	global_load_u8 v15, v[12:13], off offset:6
	s_wait_loadcnt 0x1
	s_wait_xcnt 0x1
	v_perm_b32 v10, v9, v14, 0x1000706
	s_wait_loadcnt 0x0
	s_wait_xcnt 0x0
	v_lshrrev_b16 v12, 4, v15
	v_cvt_f32_f16_e32 v9, v9
	v_dual_lshrrev_b32 v11, v2, v10 :: v_dual_lshrrev_b32 v10, v8, v10
	s_delay_alu instid0(VALU_DEP_1) | instskip(NEXT) | instid1(VALU_DEP_1)
	v_dual_lshlrev_b32 v11, 4, v11 :: v_dual_bitop2_b32 v12, -16, v12 bitop3:0x54
	v_bfe_i32 v12, v12, 0, 16
	s_delay_alu instid0(VALU_DEP_2) | instskip(NEXT) | instid1(VALU_DEP_4)
	v_and_b32_e32 v11, 16, v11
	v_and_b32_e32 v10, 16, v10
	s_delay_alu instid0(VALU_DEP_1) | instskip(NEXT) | instid1(VALU_DEP_1)
	v_dual_add_nc_u32 v10, v10, v12 :: v_dual_bitop2_b32 v13, -16, v15 bitop3:0x54
	v_add_nc_u32_e32 v11, v13, v11
	s_delay_alu instid0(VALU_DEP_2) | instskip(NEXT) | instid1(VALU_DEP_2)
	v_cvt_f32_i32_e32 v10, v10
	v_cvt_f32_i32_e32 v11, v11
	s_delay_alu instid0(VALU_DEP_1)
	v_dual_mul_f32 v11, v9, v11 :: v_dual_mul_f32 v9, v9, v10
	s_clause 0x1
	global_store_b32 v[6:7], v11, off offset:-64
	global_store_b32 v[6:7], v9, off
	s_wait_xcnt 0x0
	v_add_nc_u64_e32 v[6:7], s[38:39], v[6:7]
	s_cbranch_vccz .LBB58_6
	s_branch .LBB58_3
.LBB58_7:
	s_endpgm
	.section	.rodata,"a",@progbits
	.p2align	6, 0x0
	.amdhsa_kernel _ZL16dequantize_blockILi32ELi2EXadL_ZL15dequantize_q5_0PKvliR15HIP_vector_typeIfLj2EEEEfEvS1_PT2_lllS2_IjLj3EElll
		.amdhsa_group_segment_fixed_size 0
		.amdhsa_private_segment_fixed_size 0
		.amdhsa_kernarg_size 336
		.amdhsa_user_sgpr_count 2
		.amdhsa_user_sgpr_dispatch_ptr 0
		.amdhsa_user_sgpr_queue_ptr 0
		.amdhsa_user_sgpr_kernarg_segment_ptr 1
		.amdhsa_user_sgpr_dispatch_id 0
		.amdhsa_user_sgpr_kernarg_preload_length 0
		.amdhsa_user_sgpr_kernarg_preload_offset 0
		.amdhsa_user_sgpr_private_segment_size 0
		.amdhsa_wavefront_size32 1
		.amdhsa_uses_dynamic_stack 0
		.amdhsa_enable_private_segment 0
		.amdhsa_system_sgpr_workgroup_id_x 1
		.amdhsa_system_sgpr_workgroup_id_y 1
		.amdhsa_system_sgpr_workgroup_id_z 1
		.amdhsa_system_sgpr_workgroup_info 0
		.amdhsa_system_vgpr_workitem_id 0
		.amdhsa_next_free_vgpr 16
		.amdhsa_next_free_sgpr 46
		.amdhsa_named_barrier_count 0
		.amdhsa_reserve_vcc 1
		.amdhsa_float_round_mode_32 0
		.amdhsa_float_round_mode_16_64 0
		.amdhsa_float_denorm_mode_32 3
		.amdhsa_float_denorm_mode_16_64 3
		.amdhsa_fp16_overflow 0
		.amdhsa_memory_ordered 1
		.amdhsa_forward_progress 1
		.amdhsa_inst_pref_size 7
		.amdhsa_round_robin_scheduling 0
		.amdhsa_exception_fp_ieee_invalid_op 0
		.amdhsa_exception_fp_denorm_src 0
		.amdhsa_exception_fp_ieee_div_zero 0
		.amdhsa_exception_fp_ieee_overflow 0
		.amdhsa_exception_fp_ieee_underflow 0
		.amdhsa_exception_fp_ieee_inexact 0
		.amdhsa_exception_int_div_zero 0
	.end_amdhsa_kernel
	.section	.text._ZL16dequantize_blockILi32ELi2EXadL_ZL15dequantize_q5_0PKvliR15HIP_vector_typeIfLj2EEEEfEvS1_PT2_lllS2_IjLj3EElll,"axG",@progbits,_ZL16dequantize_blockILi32ELi2EXadL_ZL15dequantize_q5_0PKvliR15HIP_vector_typeIfLj2EEEEfEvS1_PT2_lllS2_IjLj3EElll,comdat
.Lfunc_end58:
	.size	_ZL16dequantize_blockILi32ELi2EXadL_ZL15dequantize_q5_0PKvliR15HIP_vector_typeIfLj2EEEEfEvS1_PT2_lllS2_IjLj3EElll, .Lfunc_end58-_ZL16dequantize_blockILi32ELi2EXadL_ZL15dequantize_q5_0PKvliR15HIP_vector_typeIfLj2EEEEfEvS1_PT2_lllS2_IjLj3EElll
                                        ; -- End function
	.set _ZL16dequantize_blockILi32ELi2EXadL_ZL15dequantize_q5_0PKvliR15HIP_vector_typeIfLj2EEEEfEvS1_PT2_lllS2_IjLj3EElll.num_vgpr, 16
	.set _ZL16dequantize_blockILi32ELi2EXadL_ZL15dequantize_q5_0PKvliR15HIP_vector_typeIfLj2EEEEfEvS1_PT2_lllS2_IjLj3EElll.num_agpr, 0
	.set _ZL16dequantize_blockILi32ELi2EXadL_ZL15dequantize_q5_0PKvliR15HIP_vector_typeIfLj2EEEEfEvS1_PT2_lllS2_IjLj3EElll.numbered_sgpr, 46
	.set _ZL16dequantize_blockILi32ELi2EXadL_ZL15dequantize_q5_0PKvliR15HIP_vector_typeIfLj2EEEEfEvS1_PT2_lllS2_IjLj3EElll.num_named_barrier, 0
	.set _ZL16dequantize_blockILi32ELi2EXadL_ZL15dequantize_q5_0PKvliR15HIP_vector_typeIfLj2EEEEfEvS1_PT2_lllS2_IjLj3EElll.private_seg_size, 0
	.set _ZL16dequantize_blockILi32ELi2EXadL_ZL15dequantize_q5_0PKvliR15HIP_vector_typeIfLj2EEEEfEvS1_PT2_lllS2_IjLj3EElll.uses_vcc, 1
	.set _ZL16dequantize_blockILi32ELi2EXadL_ZL15dequantize_q5_0PKvliR15HIP_vector_typeIfLj2EEEEfEvS1_PT2_lllS2_IjLj3EElll.uses_flat_scratch, 0
	.set _ZL16dequantize_blockILi32ELi2EXadL_ZL15dequantize_q5_0PKvliR15HIP_vector_typeIfLj2EEEEfEvS1_PT2_lllS2_IjLj3EElll.has_dyn_sized_stack, 0
	.set _ZL16dequantize_blockILi32ELi2EXadL_ZL15dequantize_q5_0PKvliR15HIP_vector_typeIfLj2EEEEfEvS1_PT2_lllS2_IjLj3EElll.has_recursion, 0
	.set _ZL16dequantize_blockILi32ELi2EXadL_ZL15dequantize_q5_0PKvliR15HIP_vector_typeIfLj2EEEEfEvS1_PT2_lllS2_IjLj3EElll.has_indirect_call, 0
	.section	.AMDGPU.csdata,"",@progbits
; Kernel info:
; codeLenInByte = 820
; TotalNumSgprs: 48
; NumVgprs: 16
; ScratchSize: 0
; MemoryBound: 0
; FloatMode: 240
; IeeeMode: 1
; LDSByteSize: 0 bytes/workgroup (compile time only)
; SGPRBlocks: 0
; VGPRBlocks: 0
; NumSGPRsForWavesPerEU: 48
; NumVGPRsForWavesPerEU: 16
; NamedBarCnt: 0
; Occupancy: 16
; WaveLimiterHint : 0
; COMPUTE_PGM_RSRC2:SCRATCH_EN: 0
; COMPUTE_PGM_RSRC2:USER_SGPR: 2
; COMPUTE_PGM_RSRC2:TRAP_HANDLER: 0
; COMPUTE_PGM_RSRC2:TGID_X_EN: 1
; COMPUTE_PGM_RSRC2:TGID_Y_EN: 1
; COMPUTE_PGM_RSRC2:TGID_Z_EN: 1
; COMPUTE_PGM_RSRC2:TIDIG_COMP_CNT: 0
	.section	.text._ZL16dequantize_blockILi32ELi2EXadL_ZL15dequantize_q5_1PKvliR15HIP_vector_typeIfLj2EEEEfEvS1_PT2_lllS2_IjLj3EElll,"axG",@progbits,_ZL16dequantize_blockILi32ELi2EXadL_ZL15dequantize_q5_1PKvliR15HIP_vector_typeIfLj2EEEEfEvS1_PT2_lllS2_IjLj3EElll,comdat
	.globl	_ZL16dequantize_blockILi32ELi2EXadL_ZL15dequantize_q5_1PKvliR15HIP_vector_typeIfLj2EEEEfEvS1_PT2_lllS2_IjLj3EElll ; -- Begin function _ZL16dequantize_blockILi32ELi2EXadL_ZL15dequantize_q5_1PKvliR15HIP_vector_typeIfLj2EEEEfEvS1_PT2_lllS2_IjLj3EElll
	.p2align	8
	.type	_ZL16dequantize_blockILi32ELi2EXadL_ZL15dequantize_q5_1PKvliR15HIP_vector_typeIfLj2EEEEfEvS1_PT2_lllS2_IjLj3EElll,@function
_ZL16dequantize_blockILi32ELi2EXadL_ZL15dequantize_q5_1PKvliR15HIP_vector_typeIfLj2EEEEfEvS1_PT2_lllS2_IjLj3EElll: ; @_ZL16dequantize_blockILi32ELi2EXadL_ZL15dequantize_q5_1PKvliR15HIP_vector_typeIfLj2EEEEfEvS1_PT2_lllS2_IjLj3EElll
; %bb.0:
	s_load_b32 s2, s[0:1], 0x5c
	s_bfe_u32 s3, ttmp6, 0x4000c
	s_and_b32 s4, ttmp6, 15
	s_add_co_i32 s3, s3, 1
	s_getreg_b32 s12, hwreg(HW_REG_IB_STS2, 6, 4)
	s_mul_i32 s3, ttmp9, s3
	v_mov_b32_e32 v1, 0
	s_add_co_i32 s3, s4, s3
	s_load_b128 s[4:7], s[0:1], 0x10
	s_wait_kmcnt 0x0
	s_and_b32 s2, s2, 0xffff
	s_cmp_eq_u32 s12, 0
	s_cselect_b32 s3, ttmp9, s3
	s_delay_alu instid0(SALU_CYCLE_1) | instskip(SKIP_2) | instid1(VALU_DEP_1)
	v_mad_nc_u64_u32 v[2:3], s2, s3, v[0:1]
	s_mov_b32 s3, 0
	s_mov_b32 s2, exec_lo
	v_lshlrev_b64_e32 v[0:1], 1, v[2:3]
	s_delay_alu instid0(VALU_DEP_1)
	v_cmpx_gt_i64_e64 s[4:5], v[0:1]
	s_cbranch_execz .LBB59_7
; %bb.1:
	s_bfe_u32 s2, ttmp6, 0x40010
	s_load_b64 s[20:21], s[0:1], 0x20
	s_and_b32 s8, ttmp7, 0xffff
	s_add_co_i32 s2, s2, 1
	s_bfe_u32 s9, ttmp6, 0x40004
	s_mul_i32 s2, s8, s2
	s_delay_alu instid0(SALU_CYCLE_1) | instskip(SKIP_2) | instid1(SALU_CYCLE_1)
	s_add_co_i32 s9, s9, s2
	s_cmp_eq_u32 s12, 0
	s_cselect_b32 s2, s8, s9
	v_cmp_le_i64_e64 s8, s[6:7], s[2:3]
	s_and_b32 vcc_lo, exec_lo, s8
	s_cbranch_vccnz .LBB59_7
; %bb.2:
	s_bfe_u32 s8, ttmp6, 0x40014
	s_lshr_b32 s13, ttmp7, 16
	s_add_co_i32 s8, s8, 1
	v_lshrrev_b64 v[0:1], 4, v[2:3]
	s_mul_i32 s14, s13, s8
	s_bfe_u32 s15, ttmp6, 0x40008
	s_mov_b32 s25, 0
	s_add_co_i32 s15, s15, s14
	s_cmp_eq_u32 s12, 0
	s_clause 0x1
	s_load_b128 s[8:11], s[0:1], 0x0
	s_load_b96 s[16:18], s[0:1], 0x28
	s_cselect_b32 s24, s13, s15
	v_lshlrev_b64_e32 v[4:5], 7, v[0:1]
	s_mul_u64 s[12:13], s[6:7], s[24:25]
	v_dual_mov_b32 v3, 0 :: v_dual_bitop2_b32 v2, 15, v2 bitop3:0x40
	s_add_nc_u64 s[12:13], s[12:13], s[2:3]
	s_add_nc_u64 s[22:23], s[0:1], 0x50
	s_mul_u64 s[12:13], s[4:5], s[12:13]
	s_delay_alu instid0(VALU_DEP_1)
	v_dual_mov_b32 v7, v3 :: v_dual_lshlrev_b32 v6, 2, v2
	v_lshl_add_u64 v[4:5], s[12:13], 2, v[4:5]
	s_load_b32 s26, s[22:23], 0x4
	s_clause 0x1
	s_load_b128 s[12:15], s[0:1], 0x38
	s_load_b64 s[28:29], s[0:1], 0x48
	s_mov_b32 s27, s25
	v_add_nc_u32_e32 v8, 12, v2
	v_add_nc_u64_e32 v[4:5], v[4:5], v[6:7]
	s_mul_u64 s[34:35], s[6:7], s[4:5]
	s_wait_xcnt 0x0
	s_mov_b32 s1, s25
	s_lshl_b64 s[34:35], s[34:35], 2
	s_wait_kmcnt 0x0
	s_mov_b32 s0, s16
	v_cmp_gt_i64_e64 s16, s[20:21], s[24:25]
	s_sub_co_i32 s33, 0, s18
	v_add_nc_u64_e32 v[4:5], s[10:11], v[4:5]
	s_mov_b64 s[10:11], s[24:25]
	s_delay_alu instid0(VALU_DEP_1)
	v_add_nc_u64_e32 v[4:5], 64, v[4:5]
	s_mul_u64 s[30:31], s[4:5], s[26:27]
	s_mov_b64 s[4:5], 0xffffffff
	s_lshl_b64 s[30:31], s[30:31], 2
	s_branch .LBB59_4
.LBB59_3:                               ;   in Loop: Header=BB59_4 Depth=1
	s_add_nc_u64 s[2:3], s[2:3], s[26:27]
	v_add_nc_u64_e32 v[4:5], s[30:31], v[4:5]
	v_cmp_ge_i64_e64 s18, s[2:3], s[6:7]
	s_and_b32 vcc_lo, exec_lo, s18
	s_cbranch_vccnz .LBB59_7
.LBB59_4:                               ; =>This Loop Header: Depth=1
                                        ;     Child Loop BB59_6 Depth 2
	s_and_not1_b32 vcc_lo, exec_lo, s16
	s_cbranch_vccnz .LBB59_3
; %bb.5:                                ;   in Loop: Header=BB59_4 Depth=1
	s_load_b32 s18, s[22:23], 0x8
	v_mov_b64_e32 v[6:7], v[4:5]
	s_mul_u64 s[36:37], s[2:3], s[12:13]
	s_mov_b32 s19, s25
	s_mul_u64 s[36:37], s[36:37], 24
	s_mov_b64 s[40:41], s[10:11]
	s_wait_kmcnt 0x0
	s_mul_u64 s[38:39], s[34:35], s[18:19]
.LBB59_6:                               ;   Parent Loop BB59_4 Depth=1
                                        ; =>  This Inner Loop Header: Depth=2
	s_and_b64 s[42:43], s[40:41], s[4:5]
	s_mov_b32 s45, s25
	s_mul_u64 s[42:43], s[0:1], s[42:43]
	s_delay_alu instid0(SALU_CYCLE_1) | instskip(NEXT) | instid1(SALU_CYCLE_1)
	s_add_co_i32 s24, s40, s43
	s_lshr_b32 s44, s24, s17
	s_delay_alu instid0(SALU_CYCLE_1)
	s_mul_i32 s24, s33, s44
	s_mul_u64 s[42:43], s[28:29], s[44:45]
	s_add_co_i32 s24, s40, s24
	s_mul_u64 s[42:43], s[42:43], 24
	s_mul_u64 s[44:45], s[14:15], s[24:25]
	s_add_nc_u64 s[42:43], s[8:9], s[42:43]
	s_mul_u64 s[44:45], s[44:45], 24
	s_add_nc_u64 s[40:41], s[40:41], s[18:19]
	s_add_nc_u64 s[42:43], s[42:43], s[44:45]
	v_cmp_ge_i64_e64 s24, s[40:41], s[20:21]
	s_add_nc_u64 s[42:43], s[42:43], s[36:37]
	s_delay_alu instid0(SALU_CYCLE_1) | instskip(SKIP_1) | instid1(VALU_DEP_1)
	v_mad_nc_u64_u32 v[10:11], v0, 24, s[42:43]
	s_and_b32 vcc_lo, exec_lo, s24
	v_mad_u32 v11, v1, 24, v11
	s_delay_alu instid0(VALU_DEP_1)
	v_add_nc_u64_e32 v[12:13], v[10:11], v[2:3]
	s_clause 0x1
	global_load_b64 v[14:15], v[10:11], off
	global_load_u8 v9, v[12:13], off offset:8
	s_wait_loadcnt 0x1
	s_wait_xcnt 0x1
	v_dual_lshrrev_b32 v10, v2, v15 :: v_dual_lshrrev_b32 v11, v8, v15
	s_wait_loadcnt 0x0
	s_wait_xcnt 0x0
	v_and_b32_e32 v12, 15, v9
	v_lshrrev_b16 v9, 4, v9
	v_lshlrev_b32_e32 v10, 4, v10
	s_delay_alu instid0(VALU_DEP_2) | instskip(NEXT) | instid1(VALU_DEP_2)
	v_and_or_b32 v9, v11, 16, v9
	v_and_or_b32 v10, v10, 16, v12
	s_delay_alu instid0(VALU_DEP_2) | instskip(NEXT) | instid1(VALU_DEP_2)
	v_cvt_f32_ubyte0_e32 v9, v9
	v_cvt_f32_ubyte0_e32 v10, v10
	s_delay_alu instid0(VALU_DEP_2) | instskip(NEXT) | instid1(VALU_DEP_2)
	v_fma_mix_f32 v9, v14, v9, v14 op_sel:[0,0,1] op_sel_hi:[1,0,1]
	v_fma_mix_f32 v10, v14, v10, v14 op_sel:[0,0,1] op_sel_hi:[1,0,1]
	s_clause 0x1
	global_store_b32 v[6:7], v10, off offset:-64
	global_store_b32 v[6:7], v9, off
	s_wait_xcnt 0x0
	v_add_nc_u64_e32 v[6:7], s[38:39], v[6:7]
	s_cbranch_vccz .LBB59_6
	s_branch .LBB59_3
.LBB59_7:
	s_endpgm
	.section	.rodata,"a",@progbits
	.p2align	6, 0x0
	.amdhsa_kernel _ZL16dequantize_blockILi32ELi2EXadL_ZL15dequantize_q5_1PKvliR15HIP_vector_typeIfLj2EEEEfEvS1_PT2_lllS2_IjLj3EElll
		.amdhsa_group_segment_fixed_size 0
		.amdhsa_private_segment_fixed_size 0
		.amdhsa_kernarg_size 336
		.amdhsa_user_sgpr_count 2
		.amdhsa_user_sgpr_dispatch_ptr 0
		.amdhsa_user_sgpr_queue_ptr 0
		.amdhsa_user_sgpr_kernarg_segment_ptr 1
		.amdhsa_user_sgpr_dispatch_id 0
		.amdhsa_user_sgpr_kernarg_preload_length 0
		.amdhsa_user_sgpr_kernarg_preload_offset 0
		.amdhsa_user_sgpr_private_segment_size 0
		.amdhsa_wavefront_size32 1
		.amdhsa_uses_dynamic_stack 0
		.amdhsa_enable_private_segment 0
		.amdhsa_system_sgpr_workgroup_id_x 1
		.amdhsa_system_sgpr_workgroup_id_y 1
		.amdhsa_system_sgpr_workgroup_id_z 1
		.amdhsa_system_sgpr_workgroup_info 0
		.amdhsa_system_vgpr_workitem_id 0
		.amdhsa_next_free_vgpr 16
		.amdhsa_next_free_sgpr 46
		.amdhsa_named_barrier_count 0
		.amdhsa_reserve_vcc 1
		.amdhsa_float_round_mode_32 0
		.amdhsa_float_round_mode_16_64 0
		.amdhsa_float_denorm_mode_32 3
		.amdhsa_float_denorm_mode_16_64 3
		.amdhsa_fp16_overflow 0
		.amdhsa_memory_ordered 1
		.amdhsa_forward_progress 1
		.amdhsa_inst_pref_size 6
		.amdhsa_round_robin_scheduling 0
		.amdhsa_exception_fp_ieee_invalid_op 0
		.amdhsa_exception_fp_denorm_src 0
		.amdhsa_exception_fp_ieee_div_zero 0
		.amdhsa_exception_fp_ieee_overflow 0
		.amdhsa_exception_fp_ieee_underflow 0
		.amdhsa_exception_fp_ieee_inexact 0
		.amdhsa_exception_int_div_zero 0
	.end_amdhsa_kernel
	.section	.text._ZL16dequantize_blockILi32ELi2EXadL_ZL15dequantize_q5_1PKvliR15HIP_vector_typeIfLj2EEEEfEvS1_PT2_lllS2_IjLj3EElll,"axG",@progbits,_ZL16dequantize_blockILi32ELi2EXadL_ZL15dequantize_q5_1PKvliR15HIP_vector_typeIfLj2EEEEfEvS1_PT2_lllS2_IjLj3EElll,comdat
.Lfunc_end59:
	.size	_ZL16dequantize_blockILi32ELi2EXadL_ZL15dequantize_q5_1PKvliR15HIP_vector_typeIfLj2EEEEfEvS1_PT2_lllS2_IjLj3EElll, .Lfunc_end59-_ZL16dequantize_blockILi32ELi2EXadL_ZL15dequantize_q5_1PKvliR15HIP_vector_typeIfLj2EEEEfEvS1_PT2_lllS2_IjLj3EElll
                                        ; -- End function
	.set _ZL16dequantize_blockILi32ELi2EXadL_ZL15dequantize_q5_1PKvliR15HIP_vector_typeIfLj2EEEEfEvS1_PT2_lllS2_IjLj3EElll.num_vgpr, 16
	.set _ZL16dequantize_blockILi32ELi2EXadL_ZL15dequantize_q5_1PKvliR15HIP_vector_typeIfLj2EEEEfEvS1_PT2_lllS2_IjLj3EElll.num_agpr, 0
	.set _ZL16dequantize_blockILi32ELi2EXadL_ZL15dequantize_q5_1PKvliR15HIP_vector_typeIfLj2EEEEfEvS1_PT2_lllS2_IjLj3EElll.numbered_sgpr, 46
	.set _ZL16dequantize_blockILi32ELi2EXadL_ZL15dequantize_q5_1PKvliR15HIP_vector_typeIfLj2EEEEfEvS1_PT2_lllS2_IjLj3EElll.num_named_barrier, 0
	.set _ZL16dequantize_blockILi32ELi2EXadL_ZL15dequantize_q5_1PKvliR15HIP_vector_typeIfLj2EEEEfEvS1_PT2_lllS2_IjLj3EElll.private_seg_size, 0
	.set _ZL16dequantize_blockILi32ELi2EXadL_ZL15dequantize_q5_1PKvliR15HIP_vector_typeIfLj2EEEEfEvS1_PT2_lllS2_IjLj3EElll.uses_vcc, 1
	.set _ZL16dequantize_blockILi32ELi2EXadL_ZL15dequantize_q5_1PKvliR15HIP_vector_typeIfLj2EEEEfEvS1_PT2_lllS2_IjLj3EElll.uses_flat_scratch, 0
	.set _ZL16dequantize_blockILi32ELi2EXadL_ZL15dequantize_q5_1PKvliR15HIP_vector_typeIfLj2EEEEfEvS1_PT2_lllS2_IjLj3EElll.has_dyn_sized_stack, 0
	.set _ZL16dequantize_blockILi32ELi2EXadL_ZL15dequantize_q5_1PKvliR15HIP_vector_typeIfLj2EEEEfEvS1_PT2_lllS2_IjLj3EElll.has_recursion, 0
	.set _ZL16dequantize_blockILi32ELi2EXadL_ZL15dequantize_q5_1PKvliR15HIP_vector_typeIfLj2EEEEfEvS1_PT2_lllS2_IjLj3EElll.has_indirect_call, 0
	.section	.AMDGPU.csdata,"",@progbits
; Kernel info:
; codeLenInByte = 768
; TotalNumSgprs: 48
; NumVgprs: 16
; ScratchSize: 0
; MemoryBound: 0
; FloatMode: 240
; IeeeMode: 1
; LDSByteSize: 0 bytes/workgroup (compile time only)
; SGPRBlocks: 0
; VGPRBlocks: 0
; NumSGPRsForWavesPerEU: 48
; NumVGPRsForWavesPerEU: 16
; NamedBarCnt: 0
; Occupancy: 16
; WaveLimiterHint : 0
; COMPUTE_PGM_RSRC2:SCRATCH_EN: 0
; COMPUTE_PGM_RSRC2:USER_SGPR: 2
; COMPUTE_PGM_RSRC2:TRAP_HANDLER: 0
; COMPUTE_PGM_RSRC2:TGID_X_EN: 1
; COMPUTE_PGM_RSRC2:TGID_Y_EN: 1
; COMPUTE_PGM_RSRC2:TGID_Z_EN: 1
; COMPUTE_PGM_RSRC2:TIDIG_COMP_CNT: 0
	.section	.text._ZL16dequantize_blockILi32ELi1EXadL_ZL15dequantize_q8_0PKvliR15HIP_vector_typeIfLj2EEEEfEvS1_PT2_lllS2_IjLj3EElll,"axG",@progbits,_ZL16dequantize_blockILi32ELi1EXadL_ZL15dequantize_q8_0PKvliR15HIP_vector_typeIfLj2EEEEfEvS1_PT2_lllS2_IjLj3EElll,comdat
	.globl	_ZL16dequantize_blockILi32ELi1EXadL_ZL15dequantize_q8_0PKvliR15HIP_vector_typeIfLj2EEEEfEvS1_PT2_lllS2_IjLj3EElll ; -- Begin function _ZL16dequantize_blockILi32ELi1EXadL_ZL15dequantize_q8_0PKvliR15HIP_vector_typeIfLj2EEEEfEvS1_PT2_lllS2_IjLj3EElll
	.p2align	8
	.type	_ZL16dequantize_blockILi32ELi1EXadL_ZL15dequantize_q8_0PKvliR15HIP_vector_typeIfLj2EEEEfEvS1_PT2_lllS2_IjLj3EElll,@function
_ZL16dequantize_blockILi32ELi1EXadL_ZL15dequantize_q8_0PKvliR15HIP_vector_typeIfLj2EEEEfEvS1_PT2_lllS2_IjLj3EElll: ; @_ZL16dequantize_blockILi32ELi1EXadL_ZL15dequantize_q8_0PKvliR15HIP_vector_typeIfLj2EEEEfEvS1_PT2_lllS2_IjLj3EElll
; %bb.0:
	s_clause 0x1
	s_load_b32 s12, s[0:1], 0x5c
	s_load_b128 s[4:7], s[0:1], 0x10
	s_bfe_u32 s2, ttmp6, 0x4000c
	s_and_b32 s3, ttmp6, 15
	s_add_co_i32 s2, s2, 1
	s_getreg_b32 s14, hwreg(HW_REG_IB_STS2, 6, 4)
	s_mul_i32 s2, ttmp9, s2
	v_mov_b32_e32 v1, 0
	s_add_co_i32 s3, s3, s2
	s_cmp_eq_u32 s14, 0
	s_cselect_b32 s13, ttmp9, s3
	s_mov_b32 s3, 0
	s_wait_kmcnt 0x0
	s_and_b32 s2, s12, 0xffff
	s_delay_alu instid0(SALU_CYCLE_1) | instskip(SKIP_1) | instid1(VALU_DEP_1)
	v_mad_nc_u64_u32 v[2:3], s2, s13, v[0:1]
	s_mov_b32 s2, exec_lo
	v_lshlrev_b64_e32 v[4:5], 1, v[2:3]
	s_delay_alu instid0(VALU_DEP_1)
	v_cmpx_gt_i64_e64 s[4:5], v[4:5]
	s_cbranch_execz .LBB60_7
; %bb.1:
	s_bfe_u32 s2, ttmp6, 0x40010
	s_load_b64 s[20:21], s[0:1], 0x20
	s_and_b32 s8, ttmp7, 0xffff
	s_add_co_i32 s2, s2, 1
	s_bfe_u32 s9, ttmp6, 0x40004
	s_mul_i32 s2, s8, s2
	s_delay_alu instid0(SALU_CYCLE_1) | instskip(SKIP_2) | instid1(SALU_CYCLE_1)
	s_add_co_i32 s9, s9, s2
	s_cmp_eq_u32 s14, 0
	s_cselect_b32 s2, s8, s9
	v_cmp_le_i64_e64 s8, s[6:7], s[2:3]
	s_and_b32 vcc_lo, exec_lo, s8
	s_cbranch_vccnz .LBB60_7
; %bb.2:
	s_bfe_u32 s15, ttmp6, 0x40014
	s_lshr_b32 s19, ttmp7, 16
	s_add_co_i32 s15, s15, 1
	v_lshrrev_b64 v[2:3], 4, v[2:3]
	s_mul_i32 s15, s19, s15
	s_bfe_u32 s24, ttmp6, 0x40008
	s_mul_i32 s13, s13, s12
	s_add_co_i32 s24, s24, s15
	s_cmp_eq_u32 s14, 0
	v_add_nc_u16 v0, s13, v0
	s_mov_b32 s25, 0
	s_cselect_b32 s24, s19, s24
	s_clause 0x1
	s_load_b128 s[8:11], s[0:1], 0x0
	s_load_b96 s[16:18], s[0:1], 0x28
	v_lshlrev_b64_e32 v[6:7], 7, v[2:3]
	s_add_nc_u64 s[22:23], s[0:1], 0x50
	s_mul_u64 s[12:13], s[6:7], s[24:25]
	s_load_b32 s26, s[22:23], 0x4
	s_add_nc_u64 s[12:13], s[12:13], s[2:3]
	v_dual_mov_b32 v1, 0 :: v_dual_bitop2_b32 v0, 15, v0 bitop3:0x40
	s_mul_u64 s[12:13], s[4:5], s[12:13]
	s_mov_b32 s27, s25
	v_lshl_add_u64 v[6:7], s[12:13], 2, v[6:7]
	s_clause 0x1
	s_load_b128 s[12:15], s[0:1], 0x38
	s_load_b64 s[28:29], s[0:1], 0x48
	v_dual_mov_b32 v9, v1 :: v_dual_lshlrev_b32 v8, 3, v0
	v_and_b32_e32 v0, 30, v4
	s_mul_u64 s[34:35], s[6:7], s[4:5]
	s_wait_xcnt 0x0
	s_mov_b64 s[0:1], s[24:25]
	s_mov_b32 s31, s25
	v_add_nc_u64_e32 v[6:7], v[6:7], v[8:9]
	s_lshl_b64 s[34:35], s[34:35], 2
	s_wait_kmcnt 0x0
	s_mov_b32 s30, s16
	v_cmp_gt_i64_e64 s16, s[20:21], s[24:25]
	s_sub_co_i32 s33, 0, s18
	v_add_nc_u64_e32 v[4:5], s[10:11], v[6:7]
	s_mul_u64 s[10:11], s[4:5], s[26:27]
	s_mov_b64 s[4:5], 0xffffffff
	s_lshl_b64 s[10:11], s[10:11], 2
	s_branch .LBB60_4
.LBB60_3:                               ;   in Loop: Header=BB60_4 Depth=1
	s_add_nc_u64 s[2:3], s[2:3], s[26:27]
	v_add_nc_u64_e32 v[4:5], s[10:11], v[4:5]
	v_cmp_ge_i64_e64 s18, s[2:3], s[6:7]
	s_and_b32 vcc_lo, exec_lo, s18
	s_cbranch_vccnz .LBB60_7
.LBB60_4:                               ; =>This Loop Header: Depth=1
                                        ;     Child Loop BB60_6 Depth 2
	s_and_not1_b32 vcc_lo, exec_lo, s16
	s_cbranch_vccnz .LBB60_3
; %bb.5:                                ;   in Loop: Header=BB60_4 Depth=1
	s_load_b32 s18, s[22:23], 0x8
	v_mov_b64_e32 v[6:7], v[4:5]
	s_mul_u64 s[36:37], s[2:3], s[12:13]
	s_mov_b32 s19, s25
	s_mul_u64 s[36:37], s[36:37], 34
	s_mov_b64 s[40:41], s[0:1]
	s_wait_kmcnt 0x0
	s_mul_u64 s[38:39], s[34:35], s[18:19]
.LBB60_6:                               ;   Parent Loop BB60_4 Depth=1
                                        ; =>  This Inner Loop Header: Depth=2
	s_and_b64 s[42:43], s[40:41], s[4:5]
	s_mov_b32 s45, s25
	s_mul_u64 s[42:43], s[30:31], s[42:43]
	s_delay_alu instid0(SALU_CYCLE_1) | instskip(NEXT) | instid1(SALU_CYCLE_1)
	s_add_co_i32 s24, s40, s43
	s_lshr_b32 s44, s24, s17
	s_delay_alu instid0(SALU_CYCLE_1)
	s_mul_i32 s24, s33, s44
	s_mul_u64 s[42:43], s[28:29], s[44:45]
	s_add_co_i32 s24, s40, s24
	s_mul_u64 s[42:43], s[42:43], 34
	s_mul_u64 s[44:45], s[14:15], s[24:25]
	s_add_nc_u64 s[42:43], s[8:9], s[42:43]
	s_mul_u64 s[44:45], s[44:45], 34
	s_add_nc_u64 s[40:41], s[40:41], s[18:19]
	s_add_nc_u64 s[42:43], s[42:43], s[44:45]
	v_cmp_ge_i64_e64 s24, s[40:41], s[20:21]
	s_add_nc_u64 s[42:43], s[42:43], s[36:37]
	s_delay_alu instid0(SALU_CYCLE_1) | instskip(SKIP_1) | instid1(VALU_DEP_1)
	v_mad_nc_u64_u32 v[8:9], v2, 34, s[42:43]
	s_and_b32 vcc_lo, exec_lo, s24
	v_mad_u32 v9, v3, 34, v9
	s_delay_alu instid0(VALU_DEP_1)
	v_add_nc_u64_e32 v[10:11], v[8:9], v[0:1]
	s_clause 0x1
	global_load_u16 v12, v[8:9], off
	global_load_u16 v13, v[10:11], off offset:2
	s_wait_loadcnt 0x0
	s_wait_xcnt 0x1
	v_ashrrev_i16 v8, 8, v13
	v_bfe_i32 v9, v13, 0, 8
	s_wait_xcnt 0x0
	s_delay_alu instid0(VALU_DEP_2) | instskip(NEXT) | instid1(VALU_DEP_2)
	v_bfe_i32 v10, v8, 0, 16
	v_bfe_i32 v9, v9, 0, 16
	v_cvt_f32_f16_e32 v8, v12
	s_delay_alu instid0(VALU_DEP_3) | instskip(NEXT) | instid1(VALU_DEP_3)
	v_cvt_f32_i32_e32 v11, v10
	v_cvt_f32_i32_e32 v10, v9
	s_delay_alu instid0(VALU_DEP_1)
	v_pk_mul_f32 v[8:9], v[8:9], v[10:11] op_sel_hi:[0,1]
	global_store_b64 v[6:7], v[8:9], off
	s_wait_xcnt 0x0
	v_add_nc_u64_e32 v[6:7], s[38:39], v[6:7]
	s_cbranch_vccz .LBB60_6
	s_branch .LBB60_3
.LBB60_7:
	s_endpgm
	.section	.rodata,"a",@progbits
	.p2align	6, 0x0
	.amdhsa_kernel _ZL16dequantize_blockILi32ELi1EXadL_ZL15dequantize_q8_0PKvliR15HIP_vector_typeIfLj2EEEEfEvS1_PT2_lllS2_IjLj3EElll
		.amdhsa_group_segment_fixed_size 0
		.amdhsa_private_segment_fixed_size 0
		.amdhsa_kernarg_size 336
		.amdhsa_user_sgpr_count 2
		.amdhsa_user_sgpr_dispatch_ptr 0
		.amdhsa_user_sgpr_queue_ptr 0
		.amdhsa_user_sgpr_kernarg_segment_ptr 1
		.amdhsa_user_sgpr_dispatch_id 0
		.amdhsa_user_sgpr_kernarg_preload_length 0
		.amdhsa_user_sgpr_kernarg_preload_offset 0
		.amdhsa_user_sgpr_private_segment_size 0
		.amdhsa_wavefront_size32 1
		.amdhsa_uses_dynamic_stack 0
		.amdhsa_enable_private_segment 0
		.amdhsa_system_sgpr_workgroup_id_x 1
		.amdhsa_system_sgpr_workgroup_id_y 1
		.amdhsa_system_sgpr_workgroup_id_z 1
		.amdhsa_system_sgpr_workgroup_info 0
		.amdhsa_system_vgpr_workitem_id 0
		.amdhsa_next_free_vgpr 14
		.amdhsa_next_free_sgpr 46
		.amdhsa_named_barrier_count 0
		.amdhsa_reserve_vcc 1
		.amdhsa_float_round_mode_32 0
		.amdhsa_float_round_mode_16_64 0
		.amdhsa_float_denorm_mode_32 3
		.amdhsa_float_denorm_mode_16_64 3
		.amdhsa_fp16_overflow 0
		.amdhsa_memory_ordered 1
		.amdhsa_forward_progress 1
		.amdhsa_inst_pref_size 6
		.amdhsa_round_robin_scheduling 0
		.amdhsa_exception_fp_ieee_invalid_op 0
		.amdhsa_exception_fp_denorm_src 0
		.amdhsa_exception_fp_ieee_div_zero 0
		.amdhsa_exception_fp_ieee_overflow 0
		.amdhsa_exception_fp_ieee_underflow 0
		.amdhsa_exception_fp_ieee_inexact 0
		.amdhsa_exception_int_div_zero 0
	.end_amdhsa_kernel
	.section	.text._ZL16dequantize_blockILi32ELi1EXadL_ZL15dequantize_q8_0PKvliR15HIP_vector_typeIfLj2EEEEfEvS1_PT2_lllS2_IjLj3EElll,"axG",@progbits,_ZL16dequantize_blockILi32ELi1EXadL_ZL15dequantize_q8_0PKvliR15HIP_vector_typeIfLj2EEEEfEvS1_PT2_lllS2_IjLj3EElll,comdat
.Lfunc_end60:
	.size	_ZL16dequantize_blockILi32ELi1EXadL_ZL15dequantize_q8_0PKvliR15HIP_vector_typeIfLj2EEEEfEvS1_PT2_lllS2_IjLj3EElll, .Lfunc_end60-_ZL16dequantize_blockILi32ELi1EXadL_ZL15dequantize_q8_0PKvliR15HIP_vector_typeIfLj2EEEEfEvS1_PT2_lllS2_IjLj3EElll
                                        ; -- End function
	.set _ZL16dequantize_blockILi32ELi1EXadL_ZL15dequantize_q8_0PKvliR15HIP_vector_typeIfLj2EEEEfEvS1_PT2_lllS2_IjLj3EElll.num_vgpr, 14
	.set _ZL16dequantize_blockILi32ELi1EXadL_ZL15dequantize_q8_0PKvliR15HIP_vector_typeIfLj2EEEEfEvS1_PT2_lllS2_IjLj3EElll.num_agpr, 0
	.set _ZL16dequantize_blockILi32ELi1EXadL_ZL15dequantize_q8_0PKvliR15HIP_vector_typeIfLj2EEEEfEvS1_PT2_lllS2_IjLj3EElll.numbered_sgpr, 46
	.set _ZL16dequantize_blockILi32ELi1EXadL_ZL15dequantize_q8_0PKvliR15HIP_vector_typeIfLj2EEEEfEvS1_PT2_lllS2_IjLj3EElll.num_named_barrier, 0
	.set _ZL16dequantize_blockILi32ELi1EXadL_ZL15dequantize_q8_0PKvliR15HIP_vector_typeIfLj2EEEEfEvS1_PT2_lllS2_IjLj3EElll.private_seg_size, 0
	.set _ZL16dequantize_blockILi32ELi1EXadL_ZL15dequantize_q8_0PKvliR15HIP_vector_typeIfLj2EEEEfEvS1_PT2_lllS2_IjLj3EElll.uses_vcc, 1
	.set _ZL16dequantize_blockILi32ELi1EXadL_ZL15dequantize_q8_0PKvliR15HIP_vector_typeIfLj2EEEEfEvS1_PT2_lllS2_IjLj3EElll.uses_flat_scratch, 0
	.set _ZL16dequantize_blockILi32ELi1EXadL_ZL15dequantize_q8_0PKvliR15HIP_vector_typeIfLj2EEEEfEvS1_PT2_lllS2_IjLj3EElll.has_dyn_sized_stack, 0
	.set _ZL16dequantize_blockILi32ELi1EXadL_ZL15dequantize_q8_0PKvliR15HIP_vector_typeIfLj2EEEEfEvS1_PT2_lllS2_IjLj3EElll.has_recursion, 0
	.set _ZL16dequantize_blockILi32ELi1EXadL_ZL15dequantize_q8_0PKvliR15HIP_vector_typeIfLj2EEEEfEvS1_PT2_lllS2_IjLj3EElll.has_indirect_call, 0
	.section	.AMDGPU.csdata,"",@progbits
; Kernel info:
; codeLenInByte = 736
; TotalNumSgprs: 48
; NumVgprs: 14
; ScratchSize: 0
; MemoryBound: 0
; FloatMode: 240
; IeeeMode: 1
; LDSByteSize: 0 bytes/workgroup (compile time only)
; SGPRBlocks: 0
; VGPRBlocks: 0
; NumSGPRsForWavesPerEU: 48
; NumVGPRsForWavesPerEU: 14
; NamedBarCnt: 0
; Occupancy: 16
; WaveLimiterHint : 0
; COMPUTE_PGM_RSRC2:SCRATCH_EN: 0
; COMPUTE_PGM_RSRC2:USER_SGPR: 2
; COMPUTE_PGM_RSRC2:TRAP_HANDLER: 0
; COMPUTE_PGM_RSRC2:TGID_X_EN: 1
; COMPUTE_PGM_RSRC2:TGID_Y_EN: 1
; COMPUTE_PGM_RSRC2:TGID_Z_EN: 1
; COMPUTE_PGM_RSRC2:TIDIG_COMP_CNT: 0
	.section	.text._ZL13convert_unaryI14__hip_bfloat16fEvPKvPT0_lll15HIP_vector_typeIjLj3EElll,"axG",@progbits,_ZL13convert_unaryI14__hip_bfloat16fEvPKvPT0_lll15HIP_vector_typeIjLj3EElll,comdat
	.globl	_ZL13convert_unaryI14__hip_bfloat16fEvPKvPT0_lll15HIP_vector_typeIjLj3EElll ; -- Begin function _ZL13convert_unaryI14__hip_bfloat16fEvPKvPT0_lll15HIP_vector_typeIjLj3EElll
	.p2align	8
	.type	_ZL13convert_unaryI14__hip_bfloat16fEvPKvPT0_lll15HIP_vector_typeIjLj3EElll,@function
_ZL13convert_unaryI14__hip_bfloat16fEvPKvPT0_lll15HIP_vector_typeIjLj3EElll: ; @_ZL13convert_unaryI14__hip_bfloat16fEvPKvPT0_lll15HIP_vector_typeIjLj3EElll
; %bb.0:
	s_clause 0x1
	s_load_b32 s2, s[0:1], 0x5c
	s_load_b128 s[4:7], s[0:1], 0x10
	s_bfe_u32 s3, ttmp6, 0x4000c
	s_and_b32 s8, ttmp6, 15
	s_add_co_i32 s3, s3, 1
	s_getreg_b32 s19, hwreg(HW_REG_IB_STS2, 6, 4)
	s_mul_i32 s3, ttmp9, s3
	v_mov_b32_e32 v1, 0
	s_add_co_i32 s8, s8, s3
	s_wait_kmcnt 0x0
	s_and_b32 s2, s2, 0xffff
	s_cmp_eq_u32 s19, 0
	s_cselect_b32 s3, ttmp9, s8
	s_delay_alu instid0(SALU_CYCLE_1) | instskip(SKIP_2) | instid1(VALU_DEP_1)
	v_mad_nc_u64_u32 v[0:1], s2, s3, v[0:1]
	s_mov_b32 s3, 0
	s_mov_b32 s2, exec_lo
	v_cmpx_gt_i64_e64 s[4:5], v[0:1]
	s_cbranch_execz .LBB61_16
; %bb.1:
	s_bfe_u32 s2, ttmp6, 0x40010
	s_load_b64 s[20:21], s[0:1], 0x20
	s_and_b32 s8, ttmp7, 0xffff
	s_add_co_i32 s2, s2, 1
	s_bfe_u32 s9, ttmp6, 0x40004
	s_mul_i32 s2, s8, s2
	s_delay_alu instid0(SALU_CYCLE_1) | instskip(SKIP_2) | instid1(SALU_CYCLE_1)
	s_add_co_i32 s9, s9, s2
	s_cmp_eq_u32 s19, 0
	s_cselect_b32 s2, s8, s9
	v_cmp_le_i64_e64 s8, s[6:7], s[2:3]
	s_and_b32 vcc_lo, exec_lo, s8
	s_cbranch_vccnz .LBB61_16
; %bb.2:
	s_clause 0x1
	s_load_b128 s[8:11], s[0:1], 0x0
	s_load_b96 s[16:18], s[0:1], 0x28
	s_add_nc_u64 s[22:23], s[0:1], 0x50
	s_clause 0x1
	s_load_b128 s[12:15], s[0:1], 0x38
	s_load_b64 s[24:25], s[0:1], 0x48
	s_load_b32 s30, s[22:23], 0x4
	s_bfe_u32 s26, ttmp6, 0x40014
	s_wait_xcnt 0x0
	s_lshr_b32 s0, ttmp7, 16
	s_add_co_i32 s26, s26, 1
	s_bfe_u32 s28, ttmp6, 0x40008
	s_mul_i32 s26, s0, s26
	s_mov_b32 s1, 0
	s_add_co_i32 s28, s28, s26
	s_cmp_eq_u32 s19, 0
	s_mov_b32 s27, s1
	s_cselect_b32 s26, s0, s28
	v_lshlrev_b64_e32 v[4:5], 1, v[0:1]
	s_wait_kmcnt 0x0
	v_cmp_gt_i64_e64 s77, s[20:21], s[26:27]
	s_mul_u64 s[54:55], s[6:7], s[4:5]
	s_mov_b32 s29, s1
	s_mov_b32 s31, s1
	v_lshl_add_u64 v[2:3], v[0:1], 2, s[10:11]
	s_mov_b32 s28, s16
	s_mov_b32 s10, s16
	;; [unrolled: 1-line block ×26, first 2 shown]
	s_lshl_b64 s[52:53], s[4:5], 2
	s_mov_b64 s[4:5], 0xffffffff
	s_lshl_b64 s[54:55], s[54:55], 2
	s_sub_co_i32 s78, 0, s18
	s_mov_b32 s79, 0x4f800000
	s_branch .LBB61_4
.LBB61_3:                               ;   in Loop: Header=BB61_4 Depth=1
	s_add_nc_u64 s[2:3], s[2:3], s[30:31]
	s_delay_alu instid0(SALU_CYCLE_1)
	v_cmp_ge_i64_e64 s0, s[2:3], s[6:7]
	s_and_b32 vcc_lo, exec_lo, s0
	s_cbranch_vccnz .LBB61_16
.LBB61_4:                               ; =>This Loop Header: Depth=1
                                        ;     Child Loop BB61_10 Depth 2
                                        ;     Child Loop BB61_14 Depth 2
	s_and_not1_b32 vcc_lo, exec_lo, s77
	s_cbranch_vccnz .LBB61_3
; %bb.5:                                ;   in Loop: Header=BB61_4 Depth=1
	s_load_b32 s18, s[22:23], 0x8
	s_mov_b32 s19, s1
	s_wait_kmcnt 0x0
	s_add_nc_u64 s[56:57], s[26:27], s[18:19]
	s_delay_alu instid0(SALU_CYCLE_1) | instskip(SKIP_1) | instid1(VALU_DEP_1)
	v_max_i64 v[6:7], s[20:21], s[56:57]
	v_cmp_lt_i64_e64 s60, s[56:57], s[20:21]
	v_cndmask_b32_e64 v8, 0, 1, s60
	s_delay_alu instid0(VALU_DEP_1) | instskip(NEXT) | instid1(VALU_DEP_4)
	v_readfirstlane_b32 s0, v8
	v_readfirstlane_b32 s58, v6
	;; [unrolled: 1-line block ×3, first 2 shown]
	s_sub_nc_u64 s[58:59], s[58:59], s[0:1]
	s_delay_alu instid0(SALU_CYCLE_1) | instskip(NEXT) | instid1(SALU_CYCLE_1)
	s_sub_nc_u64 s[56:57], s[58:59], s[56:57]
	s_and_b64 s[58:59], s[56:57], 0xffffffff00000000
	s_delay_alu instid0(SALU_CYCLE_1)
	s_cmp_lg_u64 s[58:59], 0
	s_cbranch_scc0 .LBB61_15
; %bb.6:                                ;   in Loop: Header=BB61_4 Depth=1
	s_cvt_f32_u32 s0, s18
	s_sub_nc_u64 s[62:63], 0, s[18:19]
	s_delay_alu instid0(SALU_CYCLE_2) | instskip(NEXT) | instid1(SALU_CYCLE_3)
	s_fmamk_f32 s0, s79, 0x0, s0
	v_s_rcp_f32 s0, s0
	s_delay_alu instid0(TRANS32_DEP_1) | instskip(NEXT) | instid1(SALU_CYCLE_3)
	s_mul_f32 s0, s0, 0x5f7ffffc
	s_mul_f32 s58, s0, 0x2f800000
	s_delay_alu instid0(SALU_CYCLE_3) | instskip(NEXT) | instid1(SALU_CYCLE_3)
	s_trunc_f32 s58, s58
	s_fmamk_f32 s0, s58, 0xcf800000, s0
	s_cvt_u32_f32 s59, s58
	s_delay_alu instid0(SALU_CYCLE_2) | instskip(NEXT) | instid1(SALU_CYCLE_3)
	s_cvt_u32_f32 s58, s0
	s_mul_u64 s[64:65], s[62:63], s[58:59]
	s_delay_alu instid0(SALU_CYCLE_1)
	s_mul_hi_u32 s67, s58, s65
	s_mul_i32 s66, s58, s65
	s_mul_hi_u32 s0, s58, s64
	s_mul_i32 s68, s59, s64
	s_add_nc_u64 s[66:67], s[0:1], s[66:67]
	s_mul_hi_u32 s61, s59, s64
	s_mul_hi_u32 s69, s59, s65
	s_add_co_u32 s0, s66, s68
	s_add_co_ci_u32 s0, s67, s61
	s_mul_i32 s64, s59, s65
	s_add_co_ci_u32 s65, s69, 0
	s_delay_alu instid0(SALU_CYCLE_1) | instskip(NEXT) | instid1(SALU_CYCLE_1)
	s_add_nc_u64 s[64:65], s[0:1], s[64:65]
	s_add_co_u32 s58, s58, s64
	s_cselect_b32 s0, -1, 0
	s_delay_alu instid0(SALU_CYCLE_1) | instskip(SKIP_1) | instid1(SALU_CYCLE_1)
	s_cmp_lg_u32 s0, 0
	s_add_co_ci_u32 s59, s59, s65
	s_mul_u64 s[62:63], s[62:63], s[58:59]
	s_delay_alu instid0(SALU_CYCLE_1)
	s_mul_hi_u32 s65, s58, s63
	s_mul_i32 s64, s58, s63
	s_mul_hi_u32 s0, s58, s62
	s_mul_i32 s66, s59, s62
	s_add_nc_u64 s[64:65], s[0:1], s[64:65]
	s_mul_hi_u32 s61, s59, s62
	s_mul_hi_u32 s67, s59, s63
	s_add_co_u32 s0, s64, s66
	s_add_co_ci_u32 s0, s65, s61
	s_mul_i32 s62, s59, s63
	s_add_co_ci_u32 s63, s67, 0
	s_delay_alu instid0(SALU_CYCLE_1) | instskip(NEXT) | instid1(SALU_CYCLE_1)
	s_add_nc_u64 s[62:63], s[0:1], s[62:63]
	s_add_co_u32 s58, s58, s62
	s_cselect_b32 s61, -1, 0
	s_mul_hi_u32 s0, s56, s58
	s_cmp_lg_u32 s61, 0
	s_mul_hi_u32 s61, s57, s58
	s_add_co_ci_u32 s62, s59, s63
	s_mul_i32 s63, s57, s58
	s_mul_hi_u32 s59, s56, s62
	s_mul_i32 s58, s56, s62
	s_mul_hi_u32 s64, s57, s62
	s_add_nc_u64 s[58:59], s[0:1], s[58:59]
	s_mul_i32 s62, s57, s62
	s_add_co_u32 s0, s58, s63
	s_add_co_ci_u32 s0, s59, s61
	s_add_co_ci_u32 s63, s64, 0
	s_delay_alu instid0(SALU_CYCLE_1) | instskip(NEXT) | instid1(SALU_CYCLE_1)
	s_add_nc_u64 s[58:59], s[0:1], s[62:63]
	s_and_b64 s[62:63], s[58:59], 0xffffffff00000000
	s_delay_alu instid0(SALU_CYCLE_1) | instskip(NEXT) | instid1(SALU_CYCLE_1)
	s_or_b32 s62, s62, s58
	s_mul_u64 s[58:59], s[18:19], s[62:63]
	s_add_nc_u64 s[64:65], s[62:63], 2
	s_sub_co_u32 s0, s56, s58
	s_cselect_b32 s58, -1, 0
	s_delay_alu instid0(SALU_CYCLE_1) | instskip(SKIP_3) | instid1(SALU_CYCLE_1)
	s_cmp_lg_u32 s58, 0
	s_sub_co_ci_u32 s57, s57, s59
	s_sub_co_u32 s58, s0, s18
	s_cselect_b32 s59, -1, 0
	s_cmp_lg_u32 s59, 0
	s_sub_co_ci_u32 s59, s57, 0
	s_cmp_ge_u32 s58, s18
	s_cselect_b32 s61, -1, 0
	s_cmp_eq_u32 s59, 0
	s_add_nc_u64 s[58:59], s[62:63], 1
	s_cselect_b32 s61, s61, -1
	s_delay_alu instid0(SALU_CYCLE_1)
	s_cmp_lg_u32 s61, 0
	s_cselect_b32 s58, s64, s58
	s_cselect_b32 s59, s65, s59
	s_cmp_ge_u32 s0, s18
	s_cselect_b32 s0, -1, 0
	s_cmp_eq_u32 s57, 0
	s_cselect_b32 s0, s0, -1
	s_delay_alu instid0(SALU_CYCLE_1)
	s_cmp_lg_u32 s0, 0
	s_cselect_b32 s59, s59, s63
	s_cselect_b32 s58, s58, s62
	s_cbranch_execnz .LBB61_8
.LBB61_7:                               ;   in Loop: Header=BB61_4 Depth=1
	v_cvt_f32_u32_e32 v6, s18
	s_sub_co_i32 s57, 0, s18
	s_delay_alu instid0(VALU_DEP_1) | instskip(SKIP_1) | instid1(TRANS32_DEP_1)
	v_rcp_iflag_f32_e32 v6, v6
	v_nop
	v_mul_f32_e32 v6, 0x4f7ffffe, v6
	s_delay_alu instid0(VALU_DEP_1) | instskip(NEXT) | instid1(VALU_DEP_1)
	v_cvt_u32_f32_e32 v6, v6
	v_readfirstlane_b32 s0, v6
	s_mul_i32 s57, s57, s0
	s_delay_alu instid0(SALU_CYCLE_1) | instskip(NEXT) | instid1(SALU_CYCLE_1)
	s_mul_hi_u32 s57, s0, s57
	s_add_co_i32 s0, s0, s57
	s_delay_alu instid0(SALU_CYCLE_1) | instskip(NEXT) | instid1(SALU_CYCLE_1)
	s_mul_hi_u32 s0, s56, s0
	s_mul_i32 s57, s0, s18
	s_delay_alu instid0(SALU_CYCLE_1)
	s_sub_co_i32 s56, s56, s57
	s_add_co_i32 s57, s0, 1
	s_sub_co_i32 s58, s56, s18
	s_cmp_ge_u32 s56, s18
	s_cselect_b32 s0, s57, s0
	s_cselect_b32 s56, s58, s56
	s_add_co_i32 s57, s0, 1
	s_cmp_ge_u32 s56, s18
	s_cselect_b32 s0, s57, s0
	s_delay_alu instid0(SALU_CYCLE_1)
	s_mov_b64 s[58:59], s[0:1]
.LBB61_8:                               ;   in Loop: Header=BB61_4 Depth=1
	s_and_b32 s0, s60, exec_lo
	s_cselect_b32 s0, 2, 1
	s_mul_u64 s[56:57], s[2:3], s[12:13]
	s_add_nc_u64 s[58:59], s[0:1], s[58:59]
	s_mov_b32 s0, -1
	v_cmp_lt_u64_e64 s60, s[58:59], 2
	s_and_b32 vcc_lo, exec_lo, s60
	s_mov_b64 s[60:61], s[26:27]
	s_cbranch_vccnz .LBB61_12
; %bb.9:                                ;   in Loop: Header=BB61_4 Depth=1
	s_and_b64 s[60:61], s[58:59], -2
	s_lshl_b64 s[68:69], s[18:19], 1
	s_mov_b32 s62, s2
	s_mov_b32 s63, s3
	s_add_nc_u64 s[64:65], s[50:51], s[18:19]
	s_mov_b32 s66, s75
	s_mov_b32 s67, s76
	s_mov_b32 s70, s68
	s_mov_b32 s71, s69
	s_mov_b64 s[72:73], s[60:61]
.LBB61_10:                              ;   Parent Loop BB61_4 Depth=1
                                        ; =>  This Inner Loop Header: Depth=2
	s_and_b64 s[80:81], s[66:67], s[4:5]
	s_mov_b32 s0, s64
	s_mul_u64 s[80:81], s[80:81], s[10:11]
	s_mul_u64 s[90:91], s[0:1], s[34:35]
	s_add_co_i32 s0, s81, s66
	s_add_co_i32 s80, s91, s64
	s_lshr_b32 s84, s0, s16
	s_lshr_b32 s86, s80, s17
	s_mov_b32 s85, s1
	s_mul_i32 s0, s84, s33
	s_mov_b32 s87, s1
	s_mul_i32 s82, s86, s74
	s_mul_u64 s[84:85], s[24:25], s[84:85]
	s_sub_co_i32 s0, s66, s0
	s_mov_b32 s83, s1
	s_mul_u64 s[80:81], s[36:37], s[86:87]
	s_sub_co_i32 s82, s64, s82
	s_lshl_b64 s[84:85], s[84:85], 1
	s_mul_u64 s[86:87], s[38:39], s[0:1]
	s_lshl_b64 s[80:81], s[80:81], 1
	s_mul_u64 s[82:83], s[40:41], s[82:83]
	s_add_nc_u64 s[84:85], s[8:9], s[84:85]
	s_lshl_b64 s[86:87], s[86:87], 1
	s_add_nc_u64 s[80:81], s[8:9], s[80:81]
	s_lshl_b64 s[82:83], s[82:83], 1
	s_lshl_b64 s[88:89], s[56:57], 1
	s_add_nc_u64 s[84:85], s[84:85], s[86:87]
	s_add_nc_u64 s[80:81], s[80:81], s[82:83]
	;; [unrolled: 1-line block ×4, first 2 shown]
	s_wait_xcnt 0x0
	v_add_nc_u64_e32 v[6:7], s[82:83], v[4:5]
	v_add_nc_u64_e32 v[8:9], s[80:81], v[4:5]
	s_clause 0x1
	global_load_u16 v10, v[6:7], off
	global_load_u16 v11, v[8:9], off
	s_mul_u64 s[82:83], s[66:67], s[42:43]
	s_mul_u64 s[80:81], s[64:65], s[44:45]
	s_add_nc_u64 s[82:83], s[82:83], s[2:3]
	s_add_nc_u64 s[80:81], s[80:81], s[62:63]
	s_mul_u64 s[82:83], s[82:83], s[46:47]
	s_mul_u64 s[80:81], s[80:81], s[48:49]
	s_wait_xcnt 0x1
	v_lshl_add_u64 v[6:7], s[82:83], 2, v[2:3]
	s_add_nc_u64 s[72:73], s[72:73], -2
	s_wait_xcnt 0x0
	v_lshl_add_u64 v[8:9], s[80:81], 2, v[2:3]
	s_add_nc_u64 s[64:65], s[64:65], s[70:71]
	s_add_nc_u64 s[66:67], s[66:67], s[68:69]
	s_cmp_lg_u64 s[72:73], 0
	s_wait_loadcnt 0x0
	v_dual_lshlrev_b32 v10, 16, v10 :: v_dual_lshlrev_b32 v11, 16, v11
	s_clause 0x1
	global_store_b32 v[6:7], v10, off
	global_store_b32 v[8:9], v11, off
	s_cbranch_scc1 .LBB61_10
; %bb.11:                               ;   in Loop: Header=BB61_4 Depth=1
	s_mul_u64 s[62:63], s[60:61], s[18:19]
	s_cmp_lg_u64 s[58:59], s[60:61]
	s_add_nc_u64 s[60:61], s[62:63], s[26:27]
	s_cselect_b32 s0, -1, 0
.LBB61_12:                              ;   in Loop: Header=BB61_4 Depth=1
	s_delay_alu instid0(SALU_CYCLE_1)
	s_and_b32 vcc_lo, exec_lo, s0
	s_cbranch_vccz .LBB61_3
; %bb.13:                               ;   in Loop: Header=BB61_4 Depth=1
	s_mul_u64 s[58:59], s[6:7], s[60:61]
	s_delay_alu instid0(SALU_CYCLE_1)
	s_add_nc_u64 s[58:59], s[2:3], s[58:59]
	s_wait_xcnt 0x0
	v_mad_nc_u64_u32 v[6:7], s52, s58, v[2:3]
	s_mul_i32 s0, s53, s58
	s_mul_i32 s58, s52, s59
	s_delay_alu instid0(VALU_DEP_1) | instid1(SALU_CYCLE_1)
	v_add3_u32 v7, s58, s0, v7
	s_mul_u64 s[58:59], s[54:55], s[18:19]
.LBB61_14:                              ;   Parent Loop BB61_4 Depth=1
                                        ; =>  This Inner Loop Header: Depth=2
	s_and_b64 s[62:63], s[60:61], s[4:5]
	s_mov_b32 s65, s1
	s_mul_u64 s[62:63], s[28:29], s[62:63]
	s_lshl_b64 s[66:67], s[56:57], 1
	s_add_co_i32 s0, s60, s63
	s_delay_alu instid0(SALU_CYCLE_1) | instskip(NEXT) | instid1(SALU_CYCLE_1)
	s_lshr_b32 s64, s0, s17
	s_mul_i32 s0, s78, s64
	s_mul_u64 s[62:63], s[24:25], s[64:65]
	s_add_co_i32 s0, s60, s0
	s_lshl_b64 s[62:63], s[62:63], 1
	s_mul_u64 s[64:65], s[14:15], s[0:1]
	s_add_nc_u64 s[62:63], s[8:9], s[62:63]
	s_lshl_b64 s[64:65], s[64:65], 1
	s_add_nc_u64 s[60:61], s[60:61], s[18:19]
	s_add_nc_u64 s[62:63], s[62:63], s[64:65]
	v_cmp_ge_i64_e64 s0, s[60:61], s[20:21]
	s_add_nc_u64 s[62:63], s[62:63], s[66:67]
	s_wait_xcnt 0x0
	v_lshl_add_u64 v[8:9], v[0:1], 1, s[62:63]
	s_and_b32 vcc_lo, exec_lo, s0
	global_load_u16 v8, v[8:9], off
	s_wait_loadcnt 0x0
	v_lshlrev_b32_e32 v8, 16, v8
	global_store_b32 v[6:7], v8, off
	s_wait_xcnt 0x0
	v_add_nc_u64_e32 v[6:7], s[58:59], v[6:7]
	s_cbranch_vccz .LBB61_14
	s_branch .LBB61_3
.LBB61_15:                              ;   in Loop: Header=BB61_4 Depth=1
                                        ; implicit-def: $sgpr58_sgpr59
	s_branch .LBB61_7
.LBB61_16:
	s_endpgm
	.section	.rodata,"a",@progbits
	.p2align	6, 0x0
	.amdhsa_kernel _ZL13convert_unaryI14__hip_bfloat16fEvPKvPT0_lll15HIP_vector_typeIjLj3EElll
		.amdhsa_group_segment_fixed_size 0
		.amdhsa_private_segment_fixed_size 0
		.amdhsa_kernarg_size 336
		.amdhsa_user_sgpr_count 2
		.amdhsa_user_sgpr_dispatch_ptr 0
		.amdhsa_user_sgpr_queue_ptr 0
		.amdhsa_user_sgpr_kernarg_segment_ptr 1
		.amdhsa_user_sgpr_dispatch_id 0
		.amdhsa_user_sgpr_kernarg_preload_length 0
		.amdhsa_user_sgpr_kernarg_preload_offset 0
		.amdhsa_user_sgpr_private_segment_size 0
		.amdhsa_wavefront_size32 1
		.amdhsa_uses_dynamic_stack 0
		.amdhsa_enable_private_segment 0
		.amdhsa_system_sgpr_workgroup_id_x 1
		.amdhsa_system_sgpr_workgroup_id_y 1
		.amdhsa_system_sgpr_workgroup_id_z 1
		.amdhsa_system_sgpr_workgroup_info 0
		.amdhsa_system_vgpr_workitem_id 0
		.amdhsa_next_free_vgpr 12
		.amdhsa_next_free_sgpr 92
		.amdhsa_named_barrier_count 0
		.amdhsa_reserve_vcc 1
		.amdhsa_float_round_mode_32 0
		.amdhsa_float_round_mode_16_64 0
		.amdhsa_float_denorm_mode_32 3
		.amdhsa_float_denorm_mode_16_64 3
		.amdhsa_fp16_overflow 0
		.amdhsa_memory_ordered 1
		.amdhsa_forward_progress 1
		.amdhsa_inst_pref_size 14
		.amdhsa_round_robin_scheduling 0
		.amdhsa_exception_fp_ieee_invalid_op 0
		.amdhsa_exception_fp_denorm_src 0
		.amdhsa_exception_fp_ieee_div_zero 0
		.amdhsa_exception_fp_ieee_overflow 0
		.amdhsa_exception_fp_ieee_underflow 0
		.amdhsa_exception_fp_ieee_inexact 0
		.amdhsa_exception_int_div_zero 0
	.end_amdhsa_kernel
	.section	.text._ZL13convert_unaryI14__hip_bfloat16fEvPKvPT0_lll15HIP_vector_typeIjLj3EElll,"axG",@progbits,_ZL13convert_unaryI14__hip_bfloat16fEvPKvPT0_lll15HIP_vector_typeIjLj3EElll,comdat
.Lfunc_end61:
	.size	_ZL13convert_unaryI14__hip_bfloat16fEvPKvPT0_lll15HIP_vector_typeIjLj3EElll, .Lfunc_end61-_ZL13convert_unaryI14__hip_bfloat16fEvPKvPT0_lll15HIP_vector_typeIjLj3EElll
                                        ; -- End function
	.set _ZL13convert_unaryI14__hip_bfloat16fEvPKvPT0_lll15HIP_vector_typeIjLj3EElll.num_vgpr, 12
	.set _ZL13convert_unaryI14__hip_bfloat16fEvPKvPT0_lll15HIP_vector_typeIjLj3EElll.num_agpr, 0
	.set _ZL13convert_unaryI14__hip_bfloat16fEvPKvPT0_lll15HIP_vector_typeIjLj3EElll.numbered_sgpr, 92
	.set _ZL13convert_unaryI14__hip_bfloat16fEvPKvPT0_lll15HIP_vector_typeIjLj3EElll.num_named_barrier, 0
	.set _ZL13convert_unaryI14__hip_bfloat16fEvPKvPT0_lll15HIP_vector_typeIjLj3EElll.private_seg_size, 0
	.set _ZL13convert_unaryI14__hip_bfloat16fEvPKvPT0_lll15HIP_vector_typeIjLj3EElll.uses_vcc, 1
	.set _ZL13convert_unaryI14__hip_bfloat16fEvPKvPT0_lll15HIP_vector_typeIjLj3EElll.uses_flat_scratch, 0
	.set _ZL13convert_unaryI14__hip_bfloat16fEvPKvPT0_lll15HIP_vector_typeIjLj3EElll.has_dyn_sized_stack, 0
	.set _ZL13convert_unaryI14__hip_bfloat16fEvPKvPT0_lll15HIP_vector_typeIjLj3EElll.has_recursion, 0
	.set _ZL13convert_unaryI14__hip_bfloat16fEvPKvPT0_lll15HIP_vector_typeIjLj3EElll.has_indirect_call, 0
	.section	.AMDGPU.csdata,"",@progbits
; Kernel info:
; codeLenInByte = 1700
; TotalNumSgprs: 94
; NumVgprs: 12
; ScratchSize: 0
; MemoryBound: 0
; FloatMode: 240
; IeeeMode: 1
; LDSByteSize: 0 bytes/workgroup (compile time only)
; SGPRBlocks: 0
; VGPRBlocks: 0
; NumSGPRsForWavesPerEU: 94
; NumVGPRsForWavesPerEU: 12
; NamedBarCnt: 0
; Occupancy: 16
; WaveLimiterHint : 0
; COMPUTE_PGM_RSRC2:SCRATCH_EN: 0
; COMPUTE_PGM_RSRC2:USER_SGPR: 2
; COMPUTE_PGM_RSRC2:TRAP_HANDLER: 0
; COMPUTE_PGM_RSRC2:TGID_X_EN: 1
; COMPUTE_PGM_RSRC2:TGID_Y_EN: 1
; COMPUTE_PGM_RSRC2:TGID_Z_EN: 1
; COMPUTE_PGM_RSRC2:TIDIG_COMP_CNT: 0
	.section	.AMDGPU.gpr_maximums,"",@progbits
	.set amdgpu.max_num_vgpr, 0
	.set amdgpu.max_num_agpr, 0
	.set amdgpu.max_num_sgpr, 0
	.section	.AMDGPU.csdata,"",@progbits
	.type	_ZL11iq2xxs_grid,@object        ; @_ZL11iq2xxs_grid
	.section	.rodata,"a",@progbits
	.p2align	4, 0x0
_ZL11iq2xxs_grid:
	.quad	578721382704613384              ; 0x808080808080808
	.quad	578721382704613419              ; 0x80808080808082b
	;; [unrolled: 1-line block ×132, first 2 shown]
	.quad	1803700481349388313             ; 0x1908080808080819
	.quad	1803700481349392648             ; 0x1908080808081908
	;; [unrolled: 1-line block ×124, first 2 shown]
	.size	_ZL11iq2xxs_grid, 2048

	.type	_ZL12ksigns_iq2xs,@object       ; @_ZL12ksigns_iq2xs
	.p2align	4, 0x0
_ZL12ksigns_iq2xs:
	.ascii	"\000\201\202\003\204\005\006\207\210\t\n\213\f\215\216\017\220\021\022\223\024\225\226\027\030\231\232\033\234\035\036\237\240!\"\243$\245\246'(\251\252+\254-.\2570\261\2623\26456\267\2709:\273<\275\276?\300AB\303D\305\306GH\311\312K\314MN\317P\321\322S\324UV\327\330YZ\333\\\335\336_`\341\342c\344ef\347\350ij\353l\355\356o\360qr\363t\365\366wx\371\372{\374}~\377"
	.size	_ZL12ksigns_iq2xs, 128

	.type	_ZL10iq2xs_grid,@object         ; @_ZL10iq2xs_grid
	.p2align	4, 0x0
_ZL10iq2xs_grid:
	.quad	578721382704613384              ; 0x808080808080808
	.quad	578721382704613419              ; 0x80808080808082b
	;; [unrolled: 1-line block ×254, first 2 shown]
	.quad	1803700481349388313             ; 0x1908080808080819
	.quad	1803700481349392648             ; 0x1908080808081908
	;; [unrolled: 1-line block ×258, first 2 shown]
	.size	_ZL10iq2xs_grid, 4096

	.type	_ZL9iq2s_grid,@object           ; @_ZL9iq2s_grid
	.p2align	4, 0x0
_ZL9iq2s_grid:
	.quad	578721382704613384              ; 0x808080808080808
	.quad	578721382704613419              ; 0x80808080808082b
	;; [unrolled: 1-line block ×471, first 2 shown]
	.quad	1803700481349388313             ; 0x1908080808080819
	.quad	1803700481349392648             ; 0x1908080808081908
	;; [unrolled: 1-line block ×553, first 2 shown]
	.size	_ZL9iq2s_grid, 8192

	.type	_ZL11iq3xxs_grid,@object        ; @_ZL11iq3xxs_grid
	.p2align	4, 0x0
_ZL11iq3xxs_grid:
	.long	67372036                        ; 0x4040404
	.long	67372052                        ; 0x4040414
	;; [unrolled: 1-line block ×58, first 2 shown]
	.long	201589772                       ; 0xc04040c
	.long	201589788                       ; 0xc04041c
	;; [unrolled: 1-line block ×177, first 2 shown]
	.long	1040450588                      ; 0x3e04041c
	.long	1040450604                      ; 0x3e04042c
	;; [unrolled: 1-line block ×21, first 2 shown]
	.size	_ZL11iq3xxs_grid, 1024

	.type	_ZL13iq1s_grid_gpu,@object      ; @_ZL13iq1s_grid_gpu
	.p2align	4, 0x0
_ZL13iq1s_grid_gpu:
	.long	0                               ; 0x0
	.long	2                               ; 0x2
	.long	257                             ; 0x101
	.long	512                             ; 0x200
	;; [unrolled: 1-line block ×3, first 2 shown]
	.long	65537                           ; 0x10001
	.long	65793                           ; 0x10101
	.long	131072                          ; 0x20000
	.long	131074                          ; 0x20002
	.long	131584                          ; 0x20200
	.long	131586                          ; 0x20202
	.long	16777473                        ; 0x1000101
	.long	16842753                        ; 0x1010001
	;; [unrolled: 1-line block ×14, first 2 shown]
	.long	272                             ; 0x110
	.long	273                             ; 0x111
	.long	65553                           ; 0x10011
	.long	65808                           ; 0x10110
	;; [unrolled: 1-line block ×5, first 2 shown]
	.long	131345                          ; 0x20111
	.long	16777233                        ; 0x1000011
	.long	16777490                        ; 0x1000112
	;; [unrolled: 1-line block ×15, first 2 shown]
	.long	32                              ; 0x20
	.long	34                              ; 0x22
	.long	544                             ; 0x220
	.long	546                             ; 0x222
	.long	65825                           ; 0x10121
	.long	131104                          ; 0x20020
	.long	131106                          ; 0x20022
	.long	131616                          ; 0x20220
	.long	131618                          ; 0x20222
	.long	16777505                        ; 0x1000121
	.long	16842785                        ; 0x1010021
	;; [unrolled: 1-line block ×16, first 2 shown]
	.long	69633                           ; 0x11001
	.long	69888                           ; 0x11100
	;; [unrolled: 1-line block ×3, first 2 shown]
	.long	135425                          ; 0x21101
	.long	16781313                        ; 0x1001001
	.long	16781825                        ; 0x1001201
	;; [unrolled: 1-line block ×9, first 2 shown]
	.long	4113                            ; 0x1011
	.long	4368                            ; 0x1110
	;; [unrolled: 1-line block ×4, first 2 shown]
	.long	69905                           ; 0x11111
	.long	70160                           ; 0x11210
	;; [unrolled: 1-line block ×3, first 2 shown]
	.long	135697                          ; 0x21211
	.long	16781328                        ; 0x1001010
	.long	16781585                        ; 0x1001111
	;; [unrolled: 1-line block ×24, first 2 shown]
	.long	69920                           ; 0x11120
	.long	70177                           ; 0x11221
	.long	16781345                        ; 0x1001021
	.long	16781600                        ; 0x1001120
	;; [unrolled: 1-line block ×14, first 2 shown]
	.long	8192                            ; 0x2000
	.long	8194                            ; 0x2002
	;; [unrolled: 1-line block ×4, first 2 shown]
	.long	73985                           ; 0x12101
	.long	139264                          ; 0x22000
	.long	139266                          ; 0x22002
	;; [unrolled: 1-line block ×4, first 2 shown]
	.long	16785665                        ; 0x1002101
	.long	16850945                        ; 0x1012001
	.long	16851202                        ; 0x1012102
	.long	16916737                        ; 0x1022101
	.long	33562624                        ; 0x2002000
	.long	33562626                        ; 0x2002002
	.long	33563136                        ; 0x2002200
	.long	33563138                        ; 0x2002202
	.long	33628417                        ; 0x2012101
	.long	33693696                        ; 0x2022000
	.long	33693698                        ; 0x2022002
	.long	33694208                        ; 0x2022200
	.long	33694210                        ; 0x2022202
	.long	8465                            ; 0x2111
	.long	73745                           ; 0x12011
	.long	74000                           ; 0x12110
	;; [unrolled: 1-line block ×3, first 2 shown]
	.long	139536                          ; 0x22110
	.long	139537                          ; 0x22111
	.long	16785425                        ; 0x1002011
	.long	16850960                        ; 0x1012010
	;; [unrolled: 1-line block ×12, first 2 shown]
	.long	8224                            ; 0x2020
	.long	8226                            ; 0x2022
	;; [unrolled: 1-line block ×4, first 2 shown]
	.long	74017                           ; 0x12121
	.long	139296                          ; 0x22020
	.long	139298                          ; 0x22022
	;; [unrolled: 1-line block ×4, first 2 shown]
	.long	16785697                        ; 0x1002121
	.long	16850977                        ; 0x1012021
	;; [unrolled: 1-line block ×15, first 2 shown]
	.long	1114112                         ; 0x110000
	.long	1114113                         ; 0x110001
	.long	1114368                         ; 0x110100
	.long	1114625                         ; 0x110201
	.long	1179904                         ; 0x120100
	.long	1179905                         ; 0x120101
	.long	17825793                        ; 0x1100001
	.long	17826048                        ; 0x1100100
	;; [unrolled: 1-line block ×14, first 2 shown]
	.long	1048593                         ; 0x100011
	.long	1048848                         ; 0x100110
	;; [unrolled: 1-line block ×11, first 2 shown]
	.long	17826065                        ; 0x1100111
	.long	17826322                        ; 0x1100212
	;; [unrolled: 1-line block ×16, first 2 shown]
	.long	1114145                         ; 0x110021
	.long	1114400                         ; 0x110120
	;; [unrolled: 1-line block ×4, first 2 shown]
	.long	17825824                        ; 0x1100020
	.long	17826082                        ; 0x1100122
	;; [unrolled: 1-line block ×14, first 2 shown]
	.long	1052673                         ; 0x101001
	.long	1052930                         ; 0x101102
	;; [unrolled: 1-line block ×9, first 2 shown]
	.long	17829889                        ; 0x1101001
	.long	17830145                        ; 0x1101101
	;; [unrolled: 1-line block ×25, first 2 shown]
	.long	1052690                         ; 0x101012
	.long	1052945                         ; 0x101111
	;; [unrolled: 1-line block ×13, first 2 shown]
	.long	17829905                        ; 0x1101011
	.long	17830160                        ; 0x1101110
	.long	17830161                        ; 0x1101111
	.long	17830162                        ; 0x1101112
	.long	17895441                        ; 0x1111011
	.long	17895442                        ; 0x1111012
	.long	17895696                        ; 0x1111110
	.long	17895697                        ; 0x1111111
	.long	17895698                        ; 0x1111112
	.long	17895953                        ; 0x1111211
	.long	17895954                        ; 0x1111212
	.long	17960977                        ; 0x1121011
	.long	17961232                        ; 0x1121110
	.long	17961233                        ; 0x1121111
	.long	17961234                        ; 0x1121112
	.long	17961489                        ; 0x1121211
	.long	34607120                        ; 0x2101010
	.long	34607122                        ; 0x2101012
	.long	34607376                        ; 0x2101110
	.long	34607377                        ; 0x2101111
	.long	34607632                        ; 0x2101210
	.long	34607634                        ; 0x2101212
	.long	34672656                        ; 0x2111010
	.long	34672657                        ; 0x2111011
	.long	34672912                        ; 0x2111110
	.long	34672913                        ; 0x2111111
	.long	34672914                        ; 0x2111112
	.long	34673169                        ; 0x2111211
	.long	34673170                        ; 0x2111212
	.long	34738192                        ; 0x2121010
	.long	34738194                        ; 0x2121012
	.long	34738449                        ; 0x2121111
	.long	1052705                         ; 0x101021
	.long	1052960                         ; 0x101120
	;; [unrolled: 1-line block ×10, first 2 shown]
	.long	17829920                        ; 0x1101020
	.long	17829922                        ; 0x1101022
	.long	17830176                        ; 0x1101120
	.long	17830177                        ; 0x1101121
	.long	17830432                        ; 0x1101220
	.long	17830434                        ; 0x1101222
	.long	17895457                        ; 0x1111021
	.long	17895713                        ; 0x1111121
	.long	17895714                        ; 0x1111122
	.long	17895968                        ; 0x1111220
	.long	17895969                        ; 0x1111221
	.long	17960993                        ; 0x1121021
	.long	17961248                        ; 0x1121120
	.long	17961249                        ; 0x1121121
	.long	17961504                        ; 0x1121220
	.long	17961505                        ; 0x1121221
	.long	17961506                        ; 0x1121222
	.long	34607394                        ; 0x2101122
	.long	34607650                        ; 0x2101222
	.long	34672674                        ; 0x2111022
	.long	34672929                        ; 0x2111121
	.long	34738464                        ; 0x2121120
	.long	34738721                        ; 0x2121221
	.long	1122305                         ; 0x112001
	.long	1122562                         ; 0x112102
	;; [unrolled: 1-line block ×3, first 2 shown]
	.long	17833985                        ; 0x1102001
	.long	17834240                        ; 0x1102100
	;; [unrolled: 1-line block ×17, first 2 shown]
	.long	1122320                         ; 0x112010
	.long	1122322                         ; 0x112012
	;; [unrolled: 1-line block ×6, first 2 shown]
	.long	17834002                        ; 0x1102012
	.long	17834256                        ; 0x1102110
	;; [unrolled: 1-line block ×21, first 2 shown]
	.long	1057313                         ; 0x102221
	.long	1122594                         ; 0x112122
	;; [unrolled: 1-line block ×4, first 2 shown]
	.long	17834272                        ; 0x1102120
	.long	17834274                        ; 0x1102122
	;; [unrolled: 1-line block ×14, first 2 shown]
	.long	2097152                         ; 0x200000
	.long	2097154                         ; 0x200002
	;; [unrolled: 1-line block ×10, first 2 shown]
	.long	18874625                        ; 0x1200101
	.long	18939905                        ; 0x1210001
	.long	18940417                        ; 0x1210201
	.long	19005441                        ; 0x1220001
	.long	19005697                        ; 0x1220101
	.long	35651584                        ; 0x2200000
	.long	35651586                        ; 0x2200002
	.long	35652096                        ; 0x2200200
	.long	35652098                        ; 0x2200202
	.long	35717377                        ; 0x2210101
	.long	35782656                        ; 0x2220000
	.long	35782658                        ; 0x2220002
	.long	35782913                        ; 0x2220101
	.long	35783168                        ; 0x2220200
	.long	35783170                        ; 0x2220202
	.long	2097425                         ; 0x200111
	.long	2162705                         ; 0x210011
	;; [unrolled: 1-line block ×5, first 2 shown]
	.long	18874386                        ; 0x1200012
	.long	18874640                        ; 0x1200110
	;; [unrolled: 1-line block ×15, first 2 shown]
	.long	2097185                         ; 0x200021
	.long	2097696                         ; 0x200220
	;; [unrolled: 1-line block ×9, first 2 shown]
	.long	18874657                        ; 0x1200121
	.long	18939937                        ; 0x1210021
	;; [unrolled: 1-line block ×14, first 2 shown]
	.long	2101505                         ; 0x201101
	.long	2167040                         ; 0x211100
	;; [unrolled: 1-line block ×5, first 2 shown]
	.long	18878720                        ; 0x1201100
	.long	18878721                        ; 0x1201101
	;; [unrolled: 1-line block ×15, first 2 shown]
	.long	2101777                         ; 0x201211
	.long	2167057                         ; 0x211111
	;; [unrolled: 1-line block ×4, first 2 shown]
	.long	18878480                        ; 0x1201010
	.long	18878737                        ; 0x1201111
	;; [unrolled: 1-line block ×20, first 2 shown]
	.long	2101537                         ; 0x201121
	.long	2166816                         ; 0x211020
	;; [unrolled: 1-line block ×5, first 2 shown]
	.long	18878497                        ; 0x1201021
	.long	18879009                        ; 0x1201221
	;; [unrolled: 1-line block ×10, first 2 shown]
	.long	2105344                         ; 0x202000
	.long	2105346                         ; 0x202002
	;; [unrolled: 1-line block ×9, first 2 shown]
	.long	18882817                        ; 0x1202101
	.long	18948097                        ; 0x1212001
	;; [unrolled: 1-line block ×12, first 2 shown]
	.long	2105873                         ; 0x202211
	.long	2170897                         ; 0x212011
	;; [unrolled: 1-line block ×5, first 2 shown]
	.long	18882834                        ; 0x1202112
	.long	18883089                        ; 0x1202211
	;; [unrolled: 1-line block ×14, first 2 shown]
	.long	2105376                         ; 0x202020
	.long	2105378                         ; 0x202022
	;; [unrolled: 1-line block ×8, first 2 shown]
	.long	18882849                        ; 0x1202121
	.long	18948129                        ; 0x1212021
	;; [unrolled: 1-line block ×14, first 2 shown]
	.long	268435713                       ; 0x10000101
	.long	268500993                       ; 0x10010001
	;; [unrolled: 1-line block ×1419, first 2 shown]
	.size	_ZL13iq1s_grid_gpu, 8192

	.type	_ZL13kvalues_iq4nl,@object      ; @_ZL13kvalues_iq4nl
	.section	.rodata.cst16,"aM",@progbits,16
	.p2align	4, 0x0
_ZL13kvalues_iq4nl:
	.ascii	"\201\230\255\277\317\335\352\366\001\r\031&5EYq"
	.size	_ZL13kvalues_iq4nl, 16

	.type	_ZL9iq3s_grid,@object           ; @_ZL9iq3s_grid
	.section	.rodata,"a",@progbits
	.p2align	4, 0x0
_ZL9iq3s_grid:
	.long	16843009                        ; 0x1010101
	.long	16843011                        ; 0x1010103
	;; [unrolled: 1-line block ×281, first 2 shown]
	.long	117506309                       ; 0x7010105
	.long	117506819                       ; 0x7010303
	;; [unrolled: 1-line block ×231, first 2 shown]
	.size	_ZL9iq3s_grid, 2048

	.type	_ZL13kvalues_mxfp4,@object      ; @_ZL13kvalues_mxfp4
	.section	.rodata.cst16,"aM",@progbits,16
	.p2align	4, 0x0
_ZL13kvalues_mxfp4:
	.ascii	"\000\001\002\003\004\006\b\f\000\377\376\375\374\372\370\364"
	.size	_ZL13kvalues_mxfp4, 16

	.type	__hip_cuid_cd5da8f30c00022b,@object ; @__hip_cuid_cd5da8f30c00022b
	.section	.bss,"aw",@nobits
	.globl	__hip_cuid_cd5da8f30c00022b
__hip_cuid_cd5da8f30c00022b:
	.byte	0                               ; 0x0
	.size	__hip_cuid_cd5da8f30c00022b, 1

	.ident	"AMD clang version 22.0.0git (https://github.com/RadeonOpenCompute/llvm-project roc-7.2.4 26084 f58b06dce1f9c15707c5f808fd002e18c2accf7e)"
	.section	".note.GNU-stack","",@progbits
	.addrsig
	.addrsig_sym __hip_cuid_cd5da8f30c00022b
	.amdgpu_metadata
---
amdhsa.kernels:
  - .args:
      - .actual_access:  read_only
        .address_space:  global
        .offset:         0
        .size:           8
        .value_kind:     global_buffer
      - .actual_access:  write_only
        .address_space:  global
        .offset:         8
        .size:           8
        .value_kind:     global_buffer
      - .offset:         16
        .size:           8
        .value_kind:     by_value
    .group_segment_fixed_size: 2176
    .kernarg_segment_align: 8
    .kernarg_segment_size: 24
    .language:       OpenCL C
    .language_version:
      - 2
      - 0
    .max_flat_workgroup_size: 1024
    .name:           _ZL25dequantize_block_q8_0_f16ILb0EEvPKvP6__halfl
    .private_segment_fixed_size: 0
    .sgpr_count:     10
    .sgpr_spill_count: 0
    .symbol:         _ZL25dequantize_block_q8_0_f16ILb0EEvPKvP6__halfl.kd
    .uniform_work_group_size: 1
    .uses_dynamic_stack: false
    .vgpr_count:     60
    .vgpr_spill_count: 0
    .wavefront_size: 32
  - .args:
      - .actual_access:  read_only
        .address_space:  global
        .offset:         0
        .size:           8
        .value_kind:     global_buffer
      - .actual_access:  write_only
        .address_space:  global
        .offset:         8
        .size:           8
        .value_kind:     global_buffer
      - .offset:         16
        .size:           8
        .value_kind:     by_value
    .group_segment_fixed_size: 2176
    .kernarg_segment_align: 8
    .kernarg_segment_size: 24
    .language:       OpenCL C
    .language_version:
      - 2
      - 0
    .max_flat_workgroup_size: 1024
    .name:           _ZL25dequantize_block_q8_0_f16ILb1EEvPKvP6__halfl
    .private_segment_fixed_size: 0
    .sgpr_count:     18
    .sgpr_spill_count: 0
    .symbol:         _ZL25dequantize_block_q8_0_f16ILb1EEvPKvP6__halfl.kd
    .uniform_work_group_size: 1
    .uses_dynamic_stack: false
    .vgpr_count:     12
    .vgpr_spill_count: 0
    .wavefront_size: 32
  - .args:
      - .actual_access:  read_only
        .address_space:  global
        .offset:         0
        .size:           8
        .value_kind:     global_buffer
      - .actual_access:  write_only
        .address_space:  global
        .offset:         8
        .size:           8
        .value_kind:     global_buffer
      - .offset:         16
        .size:           4
        .value_kind:     by_value
    .group_segment_fixed_size: 0
    .kernarg_segment_align: 8
    .kernarg_segment_size: 20
    .language:       OpenCL C
    .language_version:
      - 2
      - 0
    .max_flat_workgroup_size: 1024
    .name:           _ZL21dequantize_block_q4_0I6__halfEvPKvPT_i
    .private_segment_fixed_size: 0
    .sgpr_count:     10
    .sgpr_spill_count: 0
    .symbol:         _ZL21dequantize_block_q4_0I6__halfEvPKvPT_i.kd
    .uniform_work_group_size: 1
    .uses_dynamic_stack: false
    .vgpr_count:     16
    .vgpr_spill_count: 0
    .wavefront_size: 32
  - .args:
      - .actual_access:  read_only
        .address_space:  global
        .offset:         0
        .size:           8
        .value_kind:     global_buffer
      - .actual_access:  write_only
        .address_space:  global
        .offset:         8
        .size:           8
        .value_kind:     global_buffer
      - .offset:         16
        .size:           4
        .value_kind:     by_value
    .group_segment_fixed_size: 0
    .kernarg_segment_align: 8
    .kernarg_segment_size: 20
    .language:       OpenCL C
    .language_version:
      - 2
      - 0
    .max_flat_workgroup_size: 1024
    .name:           _ZL21dequantize_block_q4_1I6__halfEvPKvPT_i
    .private_segment_fixed_size: 0
    .sgpr_count:     10
    .sgpr_spill_count: 0
    .symbol:         _ZL21dequantize_block_q4_1I6__halfEvPKvPT_i.kd
    .uniform_work_group_size: 1
    .uses_dynamic_stack: false
    .vgpr_count:     15
    .vgpr_spill_count: 0
    .wavefront_size: 32
  - .args:
      - .actual_access:  read_only
        .address_space:  global
        .offset:         0
        .size:           8
        .value_kind:     global_buffer
      - .actual_access:  write_only
        .address_space:  global
        .offset:         8
        .size:           8
        .value_kind:     global_buffer
    .group_segment_fixed_size: 0
    .kernarg_segment_align: 8
    .kernarg_segment_size: 16
    .language:       OpenCL C
    .language_version:
      - 2
      - 0
    .max_flat_workgroup_size: 1024
    .name:           _ZL21dequantize_block_q2_KI6__halfEvPKvPT_
    .private_segment_fixed_size: 0
    .sgpr_count:     8
    .sgpr_spill_count: 0
    .symbol:         _ZL21dequantize_block_q2_KI6__halfEvPKvPT_.kd
    .uniform_work_group_size: 1
    .uses_dynamic_stack: false
    .vgpr_count:     16
    .vgpr_spill_count: 0
    .wavefront_size: 32
  - .args:
      - .actual_access:  read_only
        .address_space:  global
        .offset:         0
        .size:           8
        .value_kind:     global_buffer
      - .actual_access:  write_only
        .address_space:  global
        .offset:         8
        .size:           8
        .value_kind:     global_buffer
    .group_segment_fixed_size: 0
    .kernarg_segment_align: 8
    .kernarg_segment_size: 16
    .language:       OpenCL C
    .language_version:
      - 2
      - 0
    .max_flat_workgroup_size: 1024
    .name:           _ZL21dequantize_block_q3_KI6__halfEvPKvPT_
    .private_segment_fixed_size: 0
    .sgpr_count:     14
    .sgpr_spill_count: 0
    .symbol:         _ZL21dequantize_block_q3_KI6__halfEvPKvPT_.kd
    .uniform_work_group_size: 1
    .uses_dynamic_stack: false
    .vgpr_count:     15
    .vgpr_spill_count: 0
    .wavefront_size: 32
  - .args:
      - .actual_access:  read_only
        .address_space:  global
        .offset:         0
        .size:           8
        .value_kind:     global_buffer
      - .actual_access:  write_only
        .address_space:  global
        .offset:         8
        .size:           8
        .value_kind:     global_buffer
    .group_segment_fixed_size: 0
    .kernarg_segment_align: 8
    .kernarg_segment_size: 16
    .language:       OpenCL C
    .language_version:
      - 2
      - 0
    .max_flat_workgroup_size: 1024
    .name:           _ZL21dequantize_block_q4_KI6__halfEvPKvPT_
    .private_segment_fixed_size: 0
    .sgpr_count:     10
    .sgpr_spill_count: 0
    .symbol:         _ZL21dequantize_block_q4_KI6__halfEvPKvPT_.kd
    .uniform_work_group_size: 1
    .uses_dynamic_stack: false
    .vgpr_count:     18
    .vgpr_spill_count: 0
    .wavefront_size: 32
  - .args:
      - .actual_access:  read_only
        .address_space:  global
        .offset:         0
        .size:           8
        .value_kind:     global_buffer
      - .actual_access:  write_only
        .address_space:  global
        .offset:         8
        .size:           8
        .value_kind:     global_buffer
    .group_segment_fixed_size: 0
    .kernarg_segment_align: 8
    .kernarg_segment_size: 16
    .language:       OpenCL C
    .language_version:
      - 2
      - 0
    .max_flat_workgroup_size: 1024
    .name:           _ZL21dequantize_block_q5_KI6__halfEvPKvPT_
    .private_segment_fixed_size: 0
    .sgpr_count:     10
    .sgpr_spill_count: 0
    .symbol:         _ZL21dequantize_block_q5_KI6__halfEvPKvPT_.kd
    .uniform_work_group_size: 1
    .uses_dynamic_stack: false
    .vgpr_count:     17
    .vgpr_spill_count: 0
    .wavefront_size: 32
  - .args:
      - .actual_access:  read_only
        .address_space:  global
        .offset:         0
        .size:           8
        .value_kind:     global_buffer
      - .actual_access:  write_only
        .address_space:  global
        .offset:         8
        .size:           8
        .value_kind:     global_buffer
    .group_segment_fixed_size: 0
    .kernarg_segment_align: 8
    .kernarg_segment_size: 16
    .language:       OpenCL C
    .language_version:
      - 2
      - 0
    .max_flat_workgroup_size: 1024
    .name:           _ZL21dequantize_block_q6_KI6__halfEvPKvPT_
    .private_segment_fixed_size: 0
    .sgpr_count:     8
    .sgpr_spill_count: 0
    .symbol:         _ZL21dequantize_block_q6_KI6__halfEvPKvPT_.kd
    .uniform_work_group_size: 1
    .uses_dynamic_stack: false
    .vgpr_count:     15
    .vgpr_spill_count: 0
    .wavefront_size: 32
  - .args:
      - .actual_access:  read_only
        .address_space:  global
        .offset:         0
        .size:           8
        .value_kind:     global_buffer
      - .actual_access:  write_only
        .address_space:  global
        .offset:         8
        .size:           8
        .value_kind:     global_buffer
    .group_segment_fixed_size: 0
    .kernarg_segment_align: 8
    .kernarg_segment_size: 16
    .language:       OpenCL C
    .language_version:
      - 2
      - 0
    .max_flat_workgroup_size: 1024
    .name:           _ZL24dequantize_block_iq2_xxsI6__halfEvPKvPT_
    .private_segment_fixed_size: 0
    .sgpr_count:     10
    .sgpr_spill_count: 0
    .symbol:         _ZL24dequantize_block_iq2_xxsI6__halfEvPKvPT_.kd
    .uniform_work_group_size: 1
    .uses_dynamic_stack: false
    .vgpr_count:     21
    .vgpr_spill_count: 0
    .wavefront_size: 32
  - .args:
      - .actual_access:  read_only
        .address_space:  global
        .offset:         0
        .size:           8
        .value_kind:     global_buffer
      - .actual_access:  write_only
        .address_space:  global
        .offset:         8
        .size:           8
        .value_kind:     global_buffer
    .group_segment_fixed_size: 0
    .kernarg_segment_align: 8
    .kernarg_segment_size: 16
    .language:       OpenCL C
    .language_version:
      - 2
      - 0
    .max_flat_workgroup_size: 1024
    .name:           _ZL23dequantize_block_iq2_xsI6__halfEvPKvPT_
    .private_segment_fixed_size: 0
    .sgpr_count:     10
    .sgpr_spill_count: 0
    .symbol:         _ZL23dequantize_block_iq2_xsI6__halfEvPKvPT_.kd
    .uniform_work_group_size: 1
    .uses_dynamic_stack: false
    .vgpr_count:     19
    .vgpr_spill_count: 0
    .wavefront_size: 32
  - .args:
      - .actual_access:  read_only
        .address_space:  global
        .offset:         0
        .size:           8
        .value_kind:     global_buffer
      - .actual_access:  write_only
        .address_space:  global
        .offset:         8
        .size:           8
        .value_kind:     global_buffer
    .group_segment_fixed_size: 0
    .kernarg_segment_align: 8
    .kernarg_segment_size: 16
    .language:       OpenCL C
    .language_version:
      - 2
      - 0
    .max_flat_workgroup_size: 1024
    .name:           _ZL22dequantize_block_iq2_sI6__halfEvPKvPT_
    .private_segment_fixed_size: 0
    .sgpr_count:     10
    .sgpr_spill_count: 0
    .symbol:         _ZL22dequantize_block_iq2_sI6__halfEvPKvPT_.kd
    .uniform_work_group_size: 1
    .uses_dynamic_stack: false
    .vgpr_count:     21
    .vgpr_spill_count: 0
    .wavefront_size: 32
  - .args:
      - .actual_access:  read_only
        .address_space:  global
        .offset:         0
        .size:           8
        .value_kind:     global_buffer
      - .actual_access:  write_only
        .address_space:  global
        .offset:         8
        .size:           8
        .value_kind:     global_buffer
    .group_segment_fixed_size: 0
    .kernarg_segment_align: 8
    .kernarg_segment_size: 16
    .language:       OpenCL C
    .language_version:
      - 2
      - 0
    .max_flat_workgroup_size: 1024
    .name:           _ZL24dequantize_block_iq3_xxsI6__halfEvPKvPT_
    .private_segment_fixed_size: 0
    .sgpr_count:     10
    .sgpr_spill_count: 0
    .symbol:         _ZL24dequantize_block_iq3_xxsI6__halfEvPKvPT_.kd
    .uniform_work_group_size: 1
    .uses_dynamic_stack: false
    .vgpr_count:     19
    .vgpr_spill_count: 0
    .wavefront_size: 32
  - .args:
      - .actual_access:  read_only
        .address_space:  global
        .offset:         0
        .size:           8
        .value_kind:     global_buffer
      - .actual_access:  write_only
        .address_space:  global
        .offset:         8
        .size:           8
        .value_kind:     global_buffer
    .group_segment_fixed_size: 0
    .kernarg_segment_align: 8
    .kernarg_segment_size: 16
    .language:       OpenCL C
    .language_version:
      - 2
      - 0
    .max_flat_workgroup_size: 1024
    .name:           _ZL22dequantize_block_iq1_sI6__halfEvPKvPT_
    .private_segment_fixed_size: 0
    .sgpr_count:     10
    .sgpr_spill_count: 0
    .symbol:         _ZL22dequantize_block_iq1_sI6__halfEvPKvPT_.kd
    .uniform_work_group_size: 1
    .uses_dynamic_stack: false
    .vgpr_count:     16
    .vgpr_spill_count: 0
    .wavefront_size: 32
  - .args:
      - .actual_access:  read_only
        .address_space:  global
        .offset:         0
        .size:           8
        .value_kind:     global_buffer
      - .actual_access:  write_only
        .address_space:  global
        .offset:         8
        .size:           8
        .value_kind:     global_buffer
    .group_segment_fixed_size: 0
    .kernarg_segment_align: 8
    .kernarg_segment_size: 16
    .language:       OpenCL C
    .language_version:
      - 2
      - 0
    .max_flat_workgroup_size: 1024
    .name:           _ZL22dequantize_block_iq1_mI6__halfEvPKvPT_
    .private_segment_fixed_size: 0
    .sgpr_count:     10
    .sgpr_spill_count: 0
    .symbol:         _ZL22dequantize_block_iq1_mI6__halfEvPKvPT_.kd
    .uniform_work_group_size: 1
    .uses_dynamic_stack: false
    .vgpr_count:     16
    .vgpr_spill_count: 0
    .wavefront_size: 32
  - .args:
      - .actual_access:  read_only
        .address_space:  global
        .offset:         0
        .size:           8
        .value_kind:     global_buffer
      - .actual_access:  write_only
        .address_space:  global
        .offset:         8
        .size:           8
        .value_kind:     global_buffer
    .group_segment_fixed_size: 0
    .kernarg_segment_align: 8
    .kernarg_segment_size: 16
    .language:       OpenCL C
    .language_version:
      - 2
      - 0
    .max_flat_workgroup_size: 1024
    .name:           _ZL23dequantize_block_iq4_nlI6__halfEvPKvPT_
    .private_segment_fixed_size: 0
    .sgpr_count:     8
    .sgpr_spill_count: 0
    .symbol:         _ZL23dequantize_block_iq4_nlI6__halfEvPKvPT_.kd
    .uniform_work_group_size: 1
    .uses_dynamic_stack: false
    .vgpr_count:     21
    .vgpr_spill_count: 0
    .wavefront_size: 32
  - .args:
      - .actual_access:  read_only
        .address_space:  global
        .offset:         0
        .size:           8
        .value_kind:     global_buffer
      - .actual_access:  write_only
        .address_space:  global
        .offset:         8
        .size:           8
        .value_kind:     global_buffer
    .group_segment_fixed_size: 0
    .kernarg_segment_align: 8
    .kernarg_segment_size: 16
    .language:       OpenCL C
    .language_version:
      - 2
      - 0
    .max_flat_workgroup_size: 1024
    .name:           _ZL23dequantize_block_iq4_xsI6__halfEvPKvPT_
    .private_segment_fixed_size: 0
    .sgpr_count:     8
    .sgpr_spill_count: 0
    .symbol:         _ZL23dequantize_block_iq4_xsI6__halfEvPKvPT_.kd
    .uniform_work_group_size: 1
    .uses_dynamic_stack: false
    .vgpr_count:     24
    .vgpr_spill_count: 0
    .wavefront_size: 32
  - .args:
      - .actual_access:  read_only
        .address_space:  global
        .offset:         0
        .size:           8
        .value_kind:     global_buffer
      - .actual_access:  write_only
        .address_space:  global
        .offset:         8
        .size:           8
        .value_kind:     global_buffer
    .group_segment_fixed_size: 0
    .kernarg_segment_align: 8
    .kernarg_segment_size: 16
    .language:       OpenCL C
    .language_version:
      - 2
      - 0
    .max_flat_workgroup_size: 1024
    .name:           _ZL22dequantize_block_iq3_sI6__halfEvPKvPT_
    .private_segment_fixed_size: 0
    .sgpr_count:     10
    .sgpr_spill_count: 0
    .symbol:         _ZL22dequantize_block_iq3_sI6__halfEvPKvPT_.kd
    .uniform_work_group_size: 1
    .uses_dynamic_stack: false
    .vgpr_count:     21
    .vgpr_spill_count: 0
    .wavefront_size: 32
  - .args:
      - .actual_access:  read_only
        .address_space:  global
        .offset:         0
        .size:           8
        .value_kind:     global_buffer
      - .actual_access:  write_only
        .address_space:  global
        .offset:         8
        .size:           8
        .value_kind:     global_buffer
    .group_segment_fixed_size: 0
    .kernarg_segment_align: 8
    .kernarg_segment_size: 16
    .language:       OpenCL C
    .language_version:
      - 2
      - 0
    .max_flat_workgroup_size: 1024
    .name:           _ZL22dequantize_block_mxfp4I6__halfEvPKvPT_
    .private_segment_fixed_size: 0
    .sgpr_count:     10
    .sgpr_spill_count: 0
    .symbol:         _ZL22dequantize_block_mxfp4I6__halfEvPKvPT_.kd
    .uniform_work_group_size: 1
    .uses_dynamic_stack: false
    .vgpr_count:     21
    .vgpr_spill_count: 0
    .wavefront_size: 32
  - .args:
      - .actual_access:  read_only
        .address_space:  global
        .offset:         0
        .size:           8
        .value_kind:     global_buffer
      - .actual_access:  write_only
        .address_space:  global
        .offset:         8
        .size:           8
        .value_kind:     global_buffer
      - .offset:         16
        .size:           8
        .value_kind:     by_value
    .group_segment_fixed_size: 0
    .kernarg_segment_align: 8
    .kernarg_segment_size: 24
    .language:       OpenCL C
    .language_version:
      - 2
      - 0
    .max_flat_workgroup_size: 1024
    .name:           _ZL22dequantize_block_nvfp4I6__halfEvPKvPT_l
    .private_segment_fixed_size: 0
    .sgpr_count:     12
    .sgpr_spill_count: 0
    .symbol:         _ZL22dequantize_block_nvfp4I6__halfEvPKvPT_l.kd
    .uniform_work_group_size: 1
    .uses_dynamic_stack: false
    .vgpr_count:     9
    .vgpr_spill_count: 0
    .wavefront_size: 32
  - .args:
      - .actual_access:  read_only
        .address_space:  global
        .offset:         0
        .size:           8
        .value_kind:     global_buffer
      - .actual_access:  write_only
        .address_space:  global
        .offset:         8
        .size:           8
        .value_kind:     global_buffer
      - .offset:         16
        .size:           4
        .value_kind:     by_value
    .group_segment_fixed_size: 0
    .kernarg_segment_align: 8
    .kernarg_segment_size: 20
    .language:       OpenCL C
    .language_version:
      - 2
      - 0
    .max_flat_workgroup_size: 1024
    .name:           _ZL21dequantize_block_q4_0IfEvPKvPT_i
    .private_segment_fixed_size: 0
    .sgpr_count:     10
    .sgpr_spill_count: 0
    .symbol:         _ZL21dequantize_block_q4_0IfEvPKvPT_i.kd
    .uniform_work_group_size: 1
    .uses_dynamic_stack: false
    .vgpr_count:     18
    .vgpr_spill_count: 0
    .wavefront_size: 32
  - .args:
      - .actual_access:  read_only
        .address_space:  global
        .offset:         0
        .size:           8
        .value_kind:     global_buffer
      - .actual_access:  write_only
        .address_space:  global
        .offset:         8
        .size:           8
        .value_kind:     global_buffer
      - .offset:         16
        .size:           4
        .value_kind:     by_value
    .group_segment_fixed_size: 0
    .kernarg_segment_align: 8
    .kernarg_segment_size: 20
    .language:       OpenCL C
    .language_version:
      - 2
      - 0
    .max_flat_workgroup_size: 1024
    .name:           _ZL21dequantize_block_q4_1IfEvPKvPT_i
    .private_segment_fixed_size: 0
    .sgpr_count:     10
    .sgpr_spill_count: 0
    .symbol:         _ZL21dequantize_block_q4_1IfEvPKvPT_i.kd
    .uniform_work_group_size: 1
    .uses_dynamic_stack: false
    .vgpr_count:     18
    .vgpr_spill_count: 0
    .wavefront_size: 32
  - .args:
      - .actual_access:  read_only
        .address_space:  global
        .offset:         0
        .size:           8
        .value_kind:     global_buffer
      - .actual_access:  write_only
        .address_space:  global
        .offset:         8
        .size:           8
        .value_kind:     global_buffer
    .group_segment_fixed_size: 0
    .kernarg_segment_align: 8
    .kernarg_segment_size: 16
    .language:       OpenCL C
    .language_version:
      - 2
      - 0
    .max_flat_workgroup_size: 1024
    .name:           _ZL21dequantize_block_q2_KIfEvPKvPT_
    .private_segment_fixed_size: 0
    .sgpr_count:     8
    .sgpr_spill_count: 0
    .symbol:         _ZL21dequantize_block_q2_KIfEvPKvPT_.kd
    .uniform_work_group_size: 1
    .uses_dynamic_stack: false
    .vgpr_count:     16
    .vgpr_spill_count: 0
    .wavefront_size: 32
  - .args:
      - .actual_access:  read_only
        .address_space:  global
        .offset:         0
        .size:           8
        .value_kind:     global_buffer
      - .actual_access:  write_only
        .address_space:  global
        .offset:         8
        .size:           8
        .value_kind:     global_buffer
    .group_segment_fixed_size: 0
    .kernarg_segment_align: 8
    .kernarg_segment_size: 16
    .language:       OpenCL C
    .language_version:
      - 2
      - 0
    .max_flat_workgroup_size: 1024
    .name:           _ZL21dequantize_block_q3_KIfEvPKvPT_
    .private_segment_fixed_size: 0
    .sgpr_count:     14
    .sgpr_spill_count: 0
    .symbol:         _ZL21dequantize_block_q3_KIfEvPKvPT_.kd
    .uniform_work_group_size: 1
    .uses_dynamic_stack: false
    .vgpr_count:     15
    .vgpr_spill_count: 0
    .wavefront_size: 32
  - .args:
      - .actual_access:  read_only
        .address_space:  global
        .offset:         0
        .size:           8
        .value_kind:     global_buffer
      - .actual_access:  write_only
        .address_space:  global
        .offset:         8
        .size:           8
        .value_kind:     global_buffer
    .group_segment_fixed_size: 0
    .kernarg_segment_align: 8
    .kernarg_segment_size: 16
    .language:       OpenCL C
    .language_version:
      - 2
      - 0
    .max_flat_workgroup_size: 1024
    .name:           _ZL21dequantize_block_q4_KIfEvPKvPT_
    .private_segment_fixed_size: 0
    .sgpr_count:     10
    .sgpr_spill_count: 0
    .symbol:         _ZL21dequantize_block_q4_KIfEvPKvPT_.kd
    .uniform_work_group_size: 1
    .uses_dynamic_stack: false
    .vgpr_count:     20
    .vgpr_spill_count: 0
    .wavefront_size: 32
  - .args:
      - .actual_access:  read_only
        .address_space:  global
        .offset:         0
        .size:           8
        .value_kind:     global_buffer
      - .actual_access:  write_only
        .address_space:  global
        .offset:         8
        .size:           8
        .value_kind:     global_buffer
    .group_segment_fixed_size: 0
    .kernarg_segment_align: 8
    .kernarg_segment_size: 16
    .language:       OpenCL C
    .language_version:
      - 2
      - 0
    .max_flat_workgroup_size: 1024
    .name:           _ZL21dequantize_block_q5_KIfEvPKvPT_
    .private_segment_fixed_size: 0
    .sgpr_count:     10
    .sgpr_spill_count: 0
    .symbol:         _ZL21dequantize_block_q5_KIfEvPKvPT_.kd
    .uniform_work_group_size: 1
    .uses_dynamic_stack: false
    .vgpr_count:     17
    .vgpr_spill_count: 0
    .wavefront_size: 32
  - .args:
      - .actual_access:  read_only
        .address_space:  global
        .offset:         0
        .size:           8
        .value_kind:     global_buffer
      - .actual_access:  write_only
        .address_space:  global
        .offset:         8
        .size:           8
        .value_kind:     global_buffer
    .group_segment_fixed_size: 0
    .kernarg_segment_align: 8
    .kernarg_segment_size: 16
    .language:       OpenCL C
    .language_version:
      - 2
      - 0
    .max_flat_workgroup_size: 1024
    .name:           _ZL21dequantize_block_q6_KIfEvPKvPT_
    .private_segment_fixed_size: 0
    .sgpr_count:     8
    .sgpr_spill_count: 0
    .symbol:         _ZL21dequantize_block_q6_KIfEvPKvPT_.kd
    .uniform_work_group_size: 1
    .uses_dynamic_stack: false
    .vgpr_count:     15
    .vgpr_spill_count: 0
    .wavefront_size: 32
  - .args:
      - .actual_access:  read_only
        .address_space:  global
        .offset:         0
        .size:           8
        .value_kind:     global_buffer
      - .actual_access:  write_only
        .address_space:  global
        .offset:         8
        .size:           8
        .value_kind:     global_buffer
    .group_segment_fixed_size: 0
    .kernarg_segment_align: 8
    .kernarg_segment_size: 16
    .language:       OpenCL C
    .language_version:
      - 2
      - 0
    .max_flat_workgroup_size: 1024
    .name:           _ZL24dequantize_block_iq2_xxsIfEvPKvPT_
    .private_segment_fixed_size: 0
    .sgpr_count:     10
    .sgpr_spill_count: 0
    .symbol:         _ZL24dequantize_block_iq2_xxsIfEvPKvPT_.kd
    .uniform_work_group_size: 1
    .uses_dynamic_stack: false
    .vgpr_count:     21
    .vgpr_spill_count: 0
    .wavefront_size: 32
  - .args:
      - .actual_access:  read_only
        .address_space:  global
        .offset:         0
        .size:           8
        .value_kind:     global_buffer
      - .actual_access:  write_only
        .address_space:  global
        .offset:         8
        .size:           8
        .value_kind:     global_buffer
    .group_segment_fixed_size: 0
    .kernarg_segment_align: 8
    .kernarg_segment_size: 16
    .language:       OpenCL C
    .language_version:
      - 2
      - 0
    .max_flat_workgroup_size: 1024
    .name:           _ZL23dequantize_block_iq2_xsIfEvPKvPT_
    .private_segment_fixed_size: 0
    .sgpr_count:     10
    .sgpr_spill_count: 0
    .symbol:         _ZL23dequantize_block_iq2_xsIfEvPKvPT_.kd
    .uniform_work_group_size: 1
    .uses_dynamic_stack: false
    .vgpr_count:     21
    .vgpr_spill_count: 0
    .wavefront_size: 32
  - .args:
      - .actual_access:  read_only
        .address_space:  global
        .offset:         0
        .size:           8
        .value_kind:     global_buffer
      - .actual_access:  write_only
        .address_space:  global
        .offset:         8
        .size:           8
        .value_kind:     global_buffer
    .group_segment_fixed_size: 0
    .kernarg_segment_align: 8
    .kernarg_segment_size: 16
    .language:       OpenCL C
    .language_version:
      - 2
      - 0
    .max_flat_workgroup_size: 1024
    .name:           _ZL22dequantize_block_iq2_sIfEvPKvPT_
    .private_segment_fixed_size: 0
    .sgpr_count:     10
    .sgpr_spill_count: 0
    .symbol:         _ZL22dequantize_block_iq2_sIfEvPKvPT_.kd
    .uniform_work_group_size: 1
    .uses_dynamic_stack: false
    .vgpr_count:     22
    .vgpr_spill_count: 0
    .wavefront_size: 32
  - .args:
      - .actual_access:  read_only
        .address_space:  global
        .offset:         0
        .size:           8
        .value_kind:     global_buffer
      - .actual_access:  write_only
        .address_space:  global
        .offset:         8
        .size:           8
        .value_kind:     global_buffer
    .group_segment_fixed_size: 0
    .kernarg_segment_align: 8
    .kernarg_segment_size: 16
    .language:       OpenCL C
    .language_version:
      - 2
      - 0
    .max_flat_workgroup_size: 1024
    .name:           _ZL24dequantize_block_iq3_xxsIfEvPKvPT_
    .private_segment_fixed_size: 0
    .sgpr_count:     10
    .sgpr_spill_count: 0
    .symbol:         _ZL24dequantize_block_iq3_xxsIfEvPKvPT_.kd
    .uniform_work_group_size: 1
    .uses_dynamic_stack: false
    .vgpr_count:     23
    .vgpr_spill_count: 0
    .wavefront_size: 32
  - .args:
      - .actual_access:  read_only
        .address_space:  global
        .offset:         0
        .size:           8
        .value_kind:     global_buffer
      - .actual_access:  write_only
        .address_space:  global
        .offset:         8
        .size:           8
        .value_kind:     global_buffer
    .group_segment_fixed_size: 0
    .kernarg_segment_align: 8
    .kernarg_segment_size: 16
    .language:       OpenCL C
    .language_version:
      - 2
      - 0
    .max_flat_workgroup_size: 1024
    .name:           _ZL22dequantize_block_iq1_sIfEvPKvPT_
    .private_segment_fixed_size: 0
    .sgpr_count:     10
    .sgpr_spill_count: 0
    .symbol:         _ZL22dequantize_block_iq1_sIfEvPKvPT_.kd
    .uniform_work_group_size: 1
    .uses_dynamic_stack: false
    .vgpr_count:     18
    .vgpr_spill_count: 0
    .wavefront_size: 32
  - .args:
      - .actual_access:  read_only
        .address_space:  global
        .offset:         0
        .size:           8
        .value_kind:     global_buffer
      - .actual_access:  write_only
        .address_space:  global
        .offset:         8
        .size:           8
        .value_kind:     global_buffer
    .group_segment_fixed_size: 0
    .kernarg_segment_align: 8
    .kernarg_segment_size: 16
    .language:       OpenCL C
    .language_version:
      - 2
      - 0
    .max_flat_workgroup_size: 1024
    .name:           _ZL22dequantize_block_iq1_mIfEvPKvPT_
    .private_segment_fixed_size: 0
    .sgpr_count:     10
    .sgpr_spill_count: 0
    .symbol:         _ZL22dequantize_block_iq1_mIfEvPKvPT_.kd
    .uniform_work_group_size: 1
    .uses_dynamic_stack: false
    .vgpr_count:     18
    .vgpr_spill_count: 0
    .wavefront_size: 32
  - .args:
      - .actual_access:  read_only
        .address_space:  global
        .offset:         0
        .size:           8
        .value_kind:     global_buffer
      - .actual_access:  write_only
        .address_space:  global
        .offset:         8
        .size:           8
        .value_kind:     global_buffer
    .group_segment_fixed_size: 0
    .kernarg_segment_align: 8
    .kernarg_segment_size: 16
    .language:       OpenCL C
    .language_version:
      - 2
      - 0
    .max_flat_workgroup_size: 1024
    .name:           _ZL23dequantize_block_iq4_nlIfEvPKvPT_
    .private_segment_fixed_size: 0
    .sgpr_count:     8
    .sgpr_spill_count: 0
    .symbol:         _ZL23dequantize_block_iq4_nlIfEvPKvPT_.kd
    .uniform_work_group_size: 1
    .uses_dynamic_stack: false
    .vgpr_count:     21
    .vgpr_spill_count: 0
    .wavefront_size: 32
  - .args:
      - .actual_access:  read_only
        .address_space:  global
        .offset:         0
        .size:           8
        .value_kind:     global_buffer
      - .actual_access:  write_only
        .address_space:  global
        .offset:         8
        .size:           8
        .value_kind:     global_buffer
    .group_segment_fixed_size: 0
    .kernarg_segment_align: 8
    .kernarg_segment_size: 16
    .language:       OpenCL C
    .language_version:
      - 2
      - 0
    .max_flat_workgroup_size: 1024
    .name:           _ZL23dequantize_block_iq4_xsIfEvPKvPT_
    .private_segment_fixed_size: 0
    .sgpr_count:     8
    .sgpr_spill_count: 0
    .symbol:         _ZL23dequantize_block_iq4_xsIfEvPKvPT_.kd
    .uniform_work_group_size: 1
    .uses_dynamic_stack: false
    .vgpr_count:     24
    .vgpr_spill_count: 0
    .wavefront_size: 32
  - .args:
      - .actual_access:  read_only
        .address_space:  global
        .offset:         0
        .size:           8
        .value_kind:     global_buffer
      - .actual_access:  write_only
        .address_space:  global
        .offset:         8
        .size:           8
        .value_kind:     global_buffer
    .group_segment_fixed_size: 0
    .kernarg_segment_align: 8
    .kernarg_segment_size: 16
    .language:       OpenCL C
    .language_version:
      - 2
      - 0
    .max_flat_workgroup_size: 1024
    .name:           _ZL22dequantize_block_iq3_sIfEvPKvPT_
    .private_segment_fixed_size: 0
    .sgpr_count:     10
    .sgpr_spill_count: 0
    .symbol:         _ZL22dequantize_block_iq3_sIfEvPKvPT_.kd
    .uniform_work_group_size: 1
    .uses_dynamic_stack: false
    .vgpr_count:     21
    .vgpr_spill_count: 0
    .wavefront_size: 32
  - .args:
      - .actual_access:  read_only
        .address_space:  global
        .offset:         0
        .size:           8
        .value_kind:     global_buffer
      - .actual_access:  write_only
        .address_space:  global
        .offset:         8
        .size:           8
        .value_kind:     global_buffer
    .group_segment_fixed_size: 0
    .kernarg_segment_align: 8
    .kernarg_segment_size: 16
    .language:       OpenCL C
    .language_version:
      - 2
      - 0
    .max_flat_workgroup_size: 1024
    .name:           _ZL22dequantize_block_mxfp4IfEvPKvPT_
    .private_segment_fixed_size: 0
    .sgpr_count:     10
    .sgpr_spill_count: 0
    .symbol:         _ZL22dequantize_block_mxfp4IfEvPKvPT_.kd
    .uniform_work_group_size: 1
    .uses_dynamic_stack: false
    .vgpr_count:     21
    .vgpr_spill_count: 0
    .wavefront_size: 32
  - .args:
      - .actual_access:  read_only
        .address_space:  global
        .offset:         0
        .size:           8
        .value_kind:     global_buffer
      - .actual_access:  write_only
        .address_space:  global
        .offset:         8
        .size:           8
        .value_kind:     global_buffer
      - .offset:         16
        .size:           8
        .value_kind:     by_value
    .group_segment_fixed_size: 0
    .kernarg_segment_align: 8
    .kernarg_segment_size: 24
    .language:       OpenCL C
    .language_version:
      - 2
      - 0
    .max_flat_workgroup_size: 1024
    .name:           _ZL22dequantize_block_nvfp4IfEvPKvPT_l
    .private_segment_fixed_size: 0
    .sgpr_count:     12
    .sgpr_spill_count: 0
    .symbol:         _ZL22dequantize_block_nvfp4IfEvPKvPT_l.kd
    .uniform_work_group_size: 1
    .uses_dynamic_stack: false
    .vgpr_count:     9
    .vgpr_spill_count: 0
    .wavefront_size: 32
  - .args:
      - .actual_access:  read_only
        .address_space:  global
        .offset:         0
        .size:           8
        .value_kind:     global_buffer
      - .actual_access:  write_only
        .address_space:  global
        .offset:         8
        .size:           8
        .value_kind:     global_buffer
      - .offset:         16
        .size:           8
        .value_kind:     by_value
      - .offset:         24
        .size:           8
        .value_kind:     by_value
      - .offset:         32
        .size:           8
        .value_kind:     by_value
      - .offset:         40
        .size:           12
        .value_kind:     by_value
      - .offset:         56
        .size:           8
        .value_kind:     by_value
      - .offset:         64
        .size:           8
        .value_kind:     by_value
      - .offset:         72
        .size:           8
        .value_kind:     by_value
      - .offset:         80
        .size:           4
        .value_kind:     hidden_block_count_x
      - .offset:         84
        .size:           4
        .value_kind:     hidden_block_count_y
      - .offset:         88
        .size:           4
        .value_kind:     hidden_block_count_z
      - .offset:         92
        .size:           2
        .value_kind:     hidden_group_size_x
      - .offset:         94
        .size:           2
        .value_kind:     hidden_group_size_y
      - .offset:         96
        .size:           2
        .value_kind:     hidden_group_size_z
      - .offset:         98
        .size:           2
        .value_kind:     hidden_remainder_x
      - .offset:         100
        .size:           2
        .value_kind:     hidden_remainder_y
      - .offset:         102
        .size:           2
        .value_kind:     hidden_remainder_z
      - .offset:         120
        .size:           8
        .value_kind:     hidden_global_offset_x
      - .offset:         128
        .size:           8
        .value_kind:     hidden_global_offset_y
      - .offset:         136
        .size:           8
        .value_kind:     hidden_global_offset_z
      - .offset:         144
        .size:           2
        .value_kind:     hidden_grid_dims
    .group_segment_fixed_size: 0
    .kernarg_segment_align: 8
    .kernarg_segment_size: 336
    .language:       OpenCL C
    .language_version:
      - 2
      - 0
    .max_flat_workgroup_size: 1024
    .name:           _ZL13convert_unaryIf6__halfEvPKvPT0_lll15HIP_vector_typeIjLj3EElll
    .private_segment_fixed_size: 0
    .sgpr_count:     94
    .sgpr_spill_count: 0
    .symbol:         _ZL13convert_unaryIf6__halfEvPKvPT0_lll15HIP_vector_typeIjLj3EElll.kd
    .uniform_work_group_size: 1
    .uses_dynamic_stack: false
    .vgpr_count:     12
    .vgpr_spill_count: 0
    .wavefront_size: 32
  - .args:
      - .actual_access:  read_only
        .address_space:  global
        .offset:         0
        .size:           8
        .value_kind:     global_buffer
      - .actual_access:  write_only
        .address_space:  global
        .offset:         8
        .size:           8
        .value_kind:     global_buffer
      - .offset:         16
        .size:           8
        .value_kind:     by_value
      - .offset:         24
        .size:           8
        .value_kind:     by_value
      - .offset:         32
        .size:           8
        .value_kind:     by_value
      - .offset:         40
        .size:           12
        .value_kind:     by_value
      - .offset:         56
        .size:           8
        .value_kind:     by_value
      - .offset:         64
        .size:           8
        .value_kind:     by_value
      - .offset:         72
        .size:           8
        .value_kind:     by_value
      - .offset:         80
        .size:           4
        .value_kind:     hidden_block_count_x
      - .offset:         84
        .size:           4
        .value_kind:     hidden_block_count_y
      - .offset:         88
        .size:           4
        .value_kind:     hidden_block_count_z
      - .offset:         92
        .size:           2
        .value_kind:     hidden_group_size_x
      - .offset:         94
        .size:           2
        .value_kind:     hidden_group_size_y
      - .offset:         96
        .size:           2
        .value_kind:     hidden_group_size_z
      - .offset:         98
        .size:           2
        .value_kind:     hidden_remainder_x
      - .offset:         100
        .size:           2
        .value_kind:     hidden_remainder_y
      - .offset:         102
        .size:           2
        .value_kind:     hidden_remainder_z
      - .offset:         120
        .size:           8
        .value_kind:     hidden_global_offset_x
      - .offset:         128
        .size:           8
        .value_kind:     hidden_global_offset_y
      - .offset:         136
        .size:           8
        .value_kind:     hidden_global_offset_z
      - .offset:         144
        .size:           2
        .value_kind:     hidden_grid_dims
    .group_segment_fixed_size: 0
    .kernarg_segment_align: 8
    .kernarg_segment_size: 336
    .language:       OpenCL C
    .language_version:
      - 2
      - 0
    .max_flat_workgroup_size: 1024
    .name:           _ZL16dequantize_blockILi128ELi1EXadL_ZL15dequantize_q1_0PKvliR15HIP_vector_typeIfLj2EEEE6__halfEvS1_PT2_lllS2_IjLj3EElll
    .private_segment_fixed_size: 0
    .sgpr_count:     48
    .sgpr_spill_count: 0
    .symbol:         _ZL16dequantize_blockILi128ELi1EXadL_ZL15dequantize_q1_0PKvliR15HIP_vector_typeIfLj2EEEE6__halfEvS1_PT2_lllS2_IjLj3EElll.kd
    .uniform_work_group_size: 1
    .uses_dynamic_stack: false
    .vgpr_count:     16
    .vgpr_spill_count: 0
    .wavefront_size: 32
  - .args:
      - .actual_access:  read_only
        .address_space:  global
        .offset:         0
        .size:           8
        .value_kind:     global_buffer
      - .actual_access:  write_only
        .address_space:  global
        .offset:         8
        .size:           8
        .value_kind:     global_buffer
      - .offset:         16
        .size:           8
        .value_kind:     by_value
      - .offset:         24
        .size:           8
        .value_kind:     by_value
      - .offset:         32
        .size:           8
        .value_kind:     by_value
      - .offset:         40
        .size:           12
        .value_kind:     by_value
      - .offset:         56
        .size:           8
        .value_kind:     by_value
      - .offset:         64
        .size:           8
        .value_kind:     by_value
      - .offset:         72
        .size:           8
        .value_kind:     by_value
      - .offset:         80
        .size:           4
        .value_kind:     hidden_block_count_x
      - .offset:         84
        .size:           4
        .value_kind:     hidden_block_count_y
      - .offset:         88
        .size:           4
        .value_kind:     hidden_block_count_z
      - .offset:         92
        .size:           2
        .value_kind:     hidden_group_size_x
      - .offset:         94
        .size:           2
        .value_kind:     hidden_group_size_y
      - .offset:         96
        .size:           2
        .value_kind:     hidden_group_size_z
      - .offset:         98
        .size:           2
        .value_kind:     hidden_remainder_x
      - .offset:         100
        .size:           2
        .value_kind:     hidden_remainder_y
      - .offset:         102
        .size:           2
        .value_kind:     hidden_remainder_z
      - .offset:         120
        .size:           8
        .value_kind:     hidden_global_offset_x
      - .offset:         128
        .size:           8
        .value_kind:     hidden_global_offset_y
      - .offset:         136
        .size:           8
        .value_kind:     hidden_global_offset_z
      - .offset:         144
        .size:           2
        .value_kind:     hidden_grid_dims
    .group_segment_fixed_size: 0
    .kernarg_segment_align: 8
    .kernarg_segment_size: 336
    .language:       OpenCL C
    .language_version:
      - 2
      - 0
    .max_flat_workgroup_size: 1024
    .name:           _ZL16dequantize_blockILi32ELi2EXadL_ZL15dequantize_q4_0PKvliR15HIP_vector_typeIfLj2EEEE6__halfEvS1_PT2_lllS2_IjLj3EElll
    .private_segment_fixed_size: 0
    .sgpr_count:     48
    .sgpr_spill_count: 0
    .symbol:         _ZL16dequantize_blockILi32ELi2EXadL_ZL15dequantize_q4_0PKvliR15HIP_vector_typeIfLj2EEEE6__halfEvS1_PT2_lllS2_IjLj3EElll.kd
    .uniform_work_group_size: 1
    .uses_dynamic_stack: false
    .vgpr_count:     14
    .vgpr_spill_count: 0
    .wavefront_size: 32
  - .args:
      - .actual_access:  read_only
        .address_space:  global
        .offset:         0
        .size:           8
        .value_kind:     global_buffer
      - .actual_access:  write_only
        .address_space:  global
        .offset:         8
        .size:           8
        .value_kind:     global_buffer
      - .offset:         16
        .size:           8
        .value_kind:     by_value
      - .offset:         24
        .size:           8
        .value_kind:     by_value
      - .offset:         32
        .size:           8
        .value_kind:     by_value
      - .offset:         40
        .size:           12
        .value_kind:     by_value
      - .offset:         56
        .size:           8
        .value_kind:     by_value
      - .offset:         64
        .size:           8
        .value_kind:     by_value
      - .offset:         72
        .size:           8
        .value_kind:     by_value
      - .offset:         80
        .size:           4
        .value_kind:     hidden_block_count_x
      - .offset:         84
        .size:           4
        .value_kind:     hidden_block_count_y
      - .offset:         88
        .size:           4
        .value_kind:     hidden_block_count_z
      - .offset:         92
        .size:           2
        .value_kind:     hidden_group_size_x
      - .offset:         94
        .size:           2
        .value_kind:     hidden_group_size_y
      - .offset:         96
        .size:           2
        .value_kind:     hidden_group_size_z
      - .offset:         98
        .size:           2
        .value_kind:     hidden_remainder_x
      - .offset:         100
        .size:           2
        .value_kind:     hidden_remainder_y
      - .offset:         102
        .size:           2
        .value_kind:     hidden_remainder_z
      - .offset:         120
        .size:           8
        .value_kind:     hidden_global_offset_x
      - .offset:         128
        .size:           8
        .value_kind:     hidden_global_offset_y
      - .offset:         136
        .size:           8
        .value_kind:     hidden_global_offset_z
      - .offset:         144
        .size:           2
        .value_kind:     hidden_grid_dims
    .group_segment_fixed_size: 0
    .kernarg_segment_align: 8
    .kernarg_segment_size: 336
    .language:       OpenCL C
    .language_version:
      - 2
      - 0
    .max_flat_workgroup_size: 1024
    .name:           _ZL16dequantize_blockILi32ELi2EXadL_ZL15dequantize_q4_1PKvliR15HIP_vector_typeIfLj2EEEE6__halfEvS1_PT2_lllS2_IjLj3EElll
    .private_segment_fixed_size: 0
    .sgpr_count:     48
    .sgpr_spill_count: 0
    .symbol:         _ZL16dequantize_blockILi32ELi2EXadL_ZL15dequantize_q4_1PKvliR15HIP_vector_typeIfLj2EEEE6__halfEvS1_PT2_lllS2_IjLj3EElll.kd
    .uniform_work_group_size: 1
    .uses_dynamic_stack: false
    .vgpr_count:     14
    .vgpr_spill_count: 0
    .wavefront_size: 32
  - .args:
      - .actual_access:  read_only
        .address_space:  global
        .offset:         0
        .size:           8
        .value_kind:     global_buffer
      - .actual_access:  write_only
        .address_space:  global
        .offset:         8
        .size:           8
        .value_kind:     global_buffer
      - .offset:         16
        .size:           8
        .value_kind:     by_value
      - .offset:         24
        .size:           8
        .value_kind:     by_value
      - .offset:         32
        .size:           8
        .value_kind:     by_value
      - .offset:         40
        .size:           12
        .value_kind:     by_value
      - .offset:         56
        .size:           8
        .value_kind:     by_value
      - .offset:         64
        .size:           8
        .value_kind:     by_value
      - .offset:         72
        .size:           8
        .value_kind:     by_value
      - .offset:         80
        .size:           4
        .value_kind:     hidden_block_count_x
      - .offset:         84
        .size:           4
        .value_kind:     hidden_block_count_y
      - .offset:         88
        .size:           4
        .value_kind:     hidden_block_count_z
      - .offset:         92
        .size:           2
        .value_kind:     hidden_group_size_x
      - .offset:         94
        .size:           2
        .value_kind:     hidden_group_size_y
      - .offset:         96
        .size:           2
        .value_kind:     hidden_group_size_z
      - .offset:         98
        .size:           2
        .value_kind:     hidden_remainder_x
      - .offset:         100
        .size:           2
        .value_kind:     hidden_remainder_y
      - .offset:         102
        .size:           2
        .value_kind:     hidden_remainder_z
      - .offset:         120
        .size:           8
        .value_kind:     hidden_global_offset_x
      - .offset:         128
        .size:           8
        .value_kind:     hidden_global_offset_y
      - .offset:         136
        .size:           8
        .value_kind:     hidden_global_offset_z
      - .offset:         144
        .size:           2
        .value_kind:     hidden_grid_dims
    .group_segment_fixed_size: 0
    .kernarg_segment_align: 8
    .kernarg_segment_size: 336
    .language:       OpenCL C
    .language_version:
      - 2
      - 0
    .max_flat_workgroup_size: 1024
    .name:           _ZL16dequantize_blockILi32ELi2EXadL_ZL15dequantize_q5_0PKvliR15HIP_vector_typeIfLj2EEEE6__halfEvS1_PT2_lllS2_IjLj3EElll
    .private_segment_fixed_size: 0
    .sgpr_count:     48
    .sgpr_spill_count: 0
    .symbol:         _ZL16dequantize_blockILi32ELi2EXadL_ZL15dequantize_q5_0PKvliR15HIP_vector_typeIfLj2EEEE6__halfEvS1_PT2_lllS2_IjLj3EElll.kd
    .uniform_work_group_size: 1
    .uses_dynamic_stack: false
    .vgpr_count:     16
    .vgpr_spill_count: 0
    .wavefront_size: 32
  - .args:
      - .actual_access:  read_only
        .address_space:  global
        .offset:         0
        .size:           8
        .value_kind:     global_buffer
      - .actual_access:  write_only
        .address_space:  global
        .offset:         8
        .size:           8
        .value_kind:     global_buffer
      - .offset:         16
        .size:           8
        .value_kind:     by_value
      - .offset:         24
        .size:           8
        .value_kind:     by_value
      - .offset:         32
        .size:           8
        .value_kind:     by_value
      - .offset:         40
        .size:           12
        .value_kind:     by_value
      - .offset:         56
        .size:           8
        .value_kind:     by_value
      - .offset:         64
        .size:           8
        .value_kind:     by_value
      - .offset:         72
        .size:           8
        .value_kind:     by_value
      - .offset:         80
        .size:           4
        .value_kind:     hidden_block_count_x
      - .offset:         84
        .size:           4
        .value_kind:     hidden_block_count_y
      - .offset:         88
        .size:           4
        .value_kind:     hidden_block_count_z
      - .offset:         92
        .size:           2
        .value_kind:     hidden_group_size_x
      - .offset:         94
        .size:           2
        .value_kind:     hidden_group_size_y
      - .offset:         96
        .size:           2
        .value_kind:     hidden_group_size_z
      - .offset:         98
        .size:           2
        .value_kind:     hidden_remainder_x
      - .offset:         100
        .size:           2
        .value_kind:     hidden_remainder_y
      - .offset:         102
        .size:           2
        .value_kind:     hidden_remainder_z
      - .offset:         120
        .size:           8
        .value_kind:     hidden_global_offset_x
      - .offset:         128
        .size:           8
        .value_kind:     hidden_global_offset_y
      - .offset:         136
        .size:           8
        .value_kind:     hidden_global_offset_z
      - .offset:         144
        .size:           2
        .value_kind:     hidden_grid_dims
    .group_segment_fixed_size: 0
    .kernarg_segment_align: 8
    .kernarg_segment_size: 336
    .language:       OpenCL C
    .language_version:
      - 2
      - 0
    .max_flat_workgroup_size: 1024
    .name:           _ZL16dequantize_blockILi32ELi2EXadL_ZL15dequantize_q5_1PKvliR15HIP_vector_typeIfLj2EEEE6__halfEvS1_PT2_lllS2_IjLj3EElll
    .private_segment_fixed_size: 0
    .sgpr_count:     48
    .sgpr_spill_count: 0
    .symbol:         _ZL16dequantize_blockILi32ELi2EXadL_ZL15dequantize_q5_1PKvliR15HIP_vector_typeIfLj2EEEE6__halfEvS1_PT2_lllS2_IjLj3EElll.kd
    .uniform_work_group_size: 1
    .uses_dynamic_stack: false
    .vgpr_count:     16
    .vgpr_spill_count: 0
    .wavefront_size: 32
  - .args:
      - .actual_access:  read_only
        .address_space:  global
        .offset:         0
        .size:           8
        .value_kind:     global_buffer
      - .actual_access:  write_only
        .address_space:  global
        .offset:         8
        .size:           8
        .value_kind:     global_buffer
      - .offset:         16
        .size:           8
        .value_kind:     by_value
      - .offset:         24
        .size:           8
        .value_kind:     by_value
      - .offset:         32
        .size:           8
        .value_kind:     by_value
      - .offset:         40
        .size:           12
        .value_kind:     by_value
      - .offset:         56
        .size:           8
        .value_kind:     by_value
      - .offset:         64
        .size:           8
        .value_kind:     by_value
      - .offset:         72
        .size:           8
        .value_kind:     by_value
      - .offset:         80
        .size:           4
        .value_kind:     hidden_block_count_x
      - .offset:         84
        .size:           4
        .value_kind:     hidden_block_count_y
      - .offset:         88
        .size:           4
        .value_kind:     hidden_block_count_z
      - .offset:         92
        .size:           2
        .value_kind:     hidden_group_size_x
      - .offset:         94
        .size:           2
        .value_kind:     hidden_group_size_y
      - .offset:         96
        .size:           2
        .value_kind:     hidden_group_size_z
      - .offset:         98
        .size:           2
        .value_kind:     hidden_remainder_x
      - .offset:         100
        .size:           2
        .value_kind:     hidden_remainder_y
      - .offset:         102
        .size:           2
        .value_kind:     hidden_remainder_z
      - .offset:         120
        .size:           8
        .value_kind:     hidden_global_offset_x
      - .offset:         128
        .size:           8
        .value_kind:     hidden_global_offset_y
      - .offset:         136
        .size:           8
        .value_kind:     hidden_global_offset_z
      - .offset:         144
        .size:           2
        .value_kind:     hidden_grid_dims
    .group_segment_fixed_size: 0
    .kernarg_segment_align: 8
    .kernarg_segment_size: 336
    .language:       OpenCL C
    .language_version:
      - 2
      - 0
    .max_flat_workgroup_size: 1024
    .name:           _ZL16dequantize_blockILi32ELi1EXadL_ZL15dequantize_q8_0PKvliR15HIP_vector_typeIfLj2EEEE6__halfEvS1_PT2_lllS2_IjLj3EElll
    .private_segment_fixed_size: 0
    .sgpr_count:     48
    .sgpr_spill_count: 0
    .symbol:         _ZL16dequantize_blockILi32ELi1EXadL_ZL15dequantize_q8_0PKvliR15HIP_vector_typeIfLj2EEEE6__halfEvS1_PT2_lllS2_IjLj3EElll.kd
    .uniform_work_group_size: 1
    .uses_dynamic_stack: false
    .vgpr_count:     14
    .vgpr_spill_count: 0
    .wavefront_size: 32
  - .args:
      - .actual_access:  read_only
        .address_space:  global
        .offset:         0
        .size:           8
        .value_kind:     global_buffer
      - .actual_access:  write_only
        .address_space:  global
        .offset:         8
        .size:           8
        .value_kind:     global_buffer
      - .offset:         16
        .size:           8
        .value_kind:     by_value
      - .offset:         24
        .size:           8
        .value_kind:     by_value
      - .offset:         32
        .size:           8
        .value_kind:     by_value
      - .offset:         40
        .size:           12
        .value_kind:     by_value
      - .offset:         56
        .size:           8
        .value_kind:     by_value
      - .offset:         64
        .size:           8
        .value_kind:     by_value
      - .offset:         72
        .size:           8
        .value_kind:     by_value
      - .offset:         80
        .size:           4
        .value_kind:     hidden_block_count_x
      - .offset:         84
        .size:           4
        .value_kind:     hidden_block_count_y
      - .offset:         88
        .size:           4
        .value_kind:     hidden_block_count_z
      - .offset:         92
        .size:           2
        .value_kind:     hidden_group_size_x
      - .offset:         94
        .size:           2
        .value_kind:     hidden_group_size_y
      - .offset:         96
        .size:           2
        .value_kind:     hidden_group_size_z
      - .offset:         98
        .size:           2
        .value_kind:     hidden_remainder_x
      - .offset:         100
        .size:           2
        .value_kind:     hidden_remainder_y
      - .offset:         102
        .size:           2
        .value_kind:     hidden_remainder_z
      - .offset:         120
        .size:           8
        .value_kind:     hidden_global_offset_x
      - .offset:         128
        .size:           8
        .value_kind:     hidden_global_offset_y
      - .offset:         136
        .size:           8
        .value_kind:     hidden_global_offset_z
      - .offset:         144
        .size:           2
        .value_kind:     hidden_grid_dims
    .group_segment_fixed_size: 0
    .kernarg_segment_align: 8
    .kernarg_segment_size: 336
    .language:       OpenCL C
    .language_version:
      - 2
      - 0
    .max_flat_workgroup_size: 1024
    .name:           _ZL13convert_unaryI14__hip_bfloat166__halfEvPKvPT0_lll15HIP_vector_typeIjLj3EElll
    .private_segment_fixed_size: 0
    .sgpr_count:     107
    .sgpr_spill_count: 49
    .symbol:         _ZL13convert_unaryI14__hip_bfloat166__halfEvPKvPT0_lll15HIP_vector_typeIjLj3EElll.kd
    .uniform_work_group_size: 1
    .uses_dynamic_stack: false
    .vgpr_count:     20
    .vgpr_spill_count: 0
    .wavefront_size: 32
  - .args:
      - .actual_access:  read_only
        .address_space:  global
        .offset:         0
        .size:           8
        .value_kind:     global_buffer
      - .actual_access:  write_only
        .address_space:  global
        .offset:         8
        .size:           8
        .value_kind:     global_buffer
      - .offset:         16
        .size:           8
        .value_kind:     by_value
      - .offset:         24
        .size:           8
        .value_kind:     by_value
      - .offset:         32
        .size:           8
        .value_kind:     by_value
      - .offset:         40
        .size:           12
        .value_kind:     by_value
      - .offset:         56
        .size:           8
        .value_kind:     by_value
      - .offset:         64
        .size:           8
        .value_kind:     by_value
      - .offset:         72
        .size:           8
        .value_kind:     by_value
      - .offset:         80
        .size:           4
        .value_kind:     hidden_block_count_x
      - .offset:         84
        .size:           4
        .value_kind:     hidden_block_count_y
      - .offset:         88
        .size:           4
        .value_kind:     hidden_block_count_z
      - .offset:         92
        .size:           2
        .value_kind:     hidden_group_size_x
      - .offset:         94
        .size:           2
        .value_kind:     hidden_group_size_y
      - .offset:         96
        .size:           2
        .value_kind:     hidden_group_size_z
      - .offset:         98
        .size:           2
        .value_kind:     hidden_remainder_x
      - .offset:         100
        .size:           2
        .value_kind:     hidden_remainder_y
      - .offset:         102
        .size:           2
        .value_kind:     hidden_remainder_z
      - .offset:         120
        .size:           8
        .value_kind:     hidden_global_offset_x
      - .offset:         128
        .size:           8
        .value_kind:     hidden_global_offset_y
      - .offset:         136
        .size:           8
        .value_kind:     hidden_global_offset_z
      - .offset:         144
        .size:           2
        .value_kind:     hidden_grid_dims
    .group_segment_fixed_size: 0
    .kernarg_segment_align: 8
    .kernarg_segment_size: 336
    .language:       OpenCL C
    .language_version:
      - 2
      - 0
    .max_flat_workgroup_size: 1024
    .name:           _ZL13convert_unaryIf14__hip_bfloat16EvPKvPT0_lll15HIP_vector_typeIjLj3EElll
    .private_segment_fixed_size: 0
    .sgpr_count:     94
    .sgpr_spill_count: 0
    .symbol:         _ZL13convert_unaryIf14__hip_bfloat16EvPKvPT0_lll15HIP_vector_typeIjLj3EElll.kd
    .uniform_work_group_size: 1
    .uses_dynamic_stack: false
    .vgpr_count:     12
    .vgpr_spill_count: 0
    .wavefront_size: 32
  - .args:
      - .actual_access:  read_only
        .address_space:  global
        .offset:         0
        .size:           8
        .value_kind:     global_buffer
      - .actual_access:  write_only
        .address_space:  global
        .offset:         8
        .size:           8
        .value_kind:     global_buffer
      - .offset:         16
        .size:           8
        .value_kind:     by_value
      - .offset:         24
        .size:           8
        .value_kind:     by_value
      - .offset:         32
        .size:           8
        .value_kind:     by_value
      - .offset:         40
        .size:           12
        .value_kind:     by_value
      - .offset:         56
        .size:           8
        .value_kind:     by_value
      - .offset:         64
        .size:           8
        .value_kind:     by_value
      - .offset:         72
        .size:           8
        .value_kind:     by_value
      - .offset:         80
        .size:           4
        .value_kind:     hidden_block_count_x
      - .offset:         84
        .size:           4
        .value_kind:     hidden_block_count_y
      - .offset:         88
        .size:           4
        .value_kind:     hidden_block_count_z
      - .offset:         92
        .size:           2
        .value_kind:     hidden_group_size_x
      - .offset:         94
        .size:           2
        .value_kind:     hidden_group_size_y
      - .offset:         96
        .size:           2
        .value_kind:     hidden_group_size_z
      - .offset:         98
        .size:           2
        .value_kind:     hidden_remainder_x
      - .offset:         100
        .size:           2
        .value_kind:     hidden_remainder_y
      - .offset:         102
        .size:           2
        .value_kind:     hidden_remainder_z
      - .offset:         120
        .size:           8
        .value_kind:     hidden_global_offset_x
      - .offset:         128
        .size:           8
        .value_kind:     hidden_global_offset_y
      - .offset:         136
        .size:           8
        .value_kind:     hidden_global_offset_z
      - .offset:         144
        .size:           2
        .value_kind:     hidden_grid_dims
    .group_segment_fixed_size: 0
    .kernarg_segment_align: 8
    .kernarg_segment_size: 336
    .language:       OpenCL C
    .language_version:
      - 2
      - 0
    .max_flat_workgroup_size: 1024
    .name:           _ZL16dequantize_blockILi128ELi1EXadL_ZL15dequantize_q1_0PKvliR15HIP_vector_typeIfLj2EEEE14__hip_bfloat16EvS1_PT2_lllS2_IjLj3EElll
    .private_segment_fixed_size: 0
    .sgpr_count:     48
    .sgpr_spill_count: 0
    .symbol:         _ZL16dequantize_blockILi128ELi1EXadL_ZL15dequantize_q1_0PKvliR15HIP_vector_typeIfLj2EEEE14__hip_bfloat16EvS1_PT2_lllS2_IjLj3EElll.kd
    .uniform_work_group_size: 1
    .uses_dynamic_stack: false
    .vgpr_count:     16
    .vgpr_spill_count: 0
    .wavefront_size: 32
  - .args:
      - .actual_access:  read_only
        .address_space:  global
        .offset:         0
        .size:           8
        .value_kind:     global_buffer
      - .actual_access:  write_only
        .address_space:  global
        .offset:         8
        .size:           8
        .value_kind:     global_buffer
      - .offset:         16
        .size:           8
        .value_kind:     by_value
      - .offset:         24
        .size:           8
        .value_kind:     by_value
      - .offset:         32
        .size:           8
        .value_kind:     by_value
      - .offset:         40
        .size:           12
        .value_kind:     by_value
      - .offset:         56
        .size:           8
        .value_kind:     by_value
      - .offset:         64
        .size:           8
        .value_kind:     by_value
      - .offset:         72
        .size:           8
        .value_kind:     by_value
      - .offset:         80
        .size:           4
        .value_kind:     hidden_block_count_x
      - .offset:         84
        .size:           4
        .value_kind:     hidden_block_count_y
      - .offset:         88
        .size:           4
        .value_kind:     hidden_block_count_z
      - .offset:         92
        .size:           2
        .value_kind:     hidden_group_size_x
      - .offset:         94
        .size:           2
        .value_kind:     hidden_group_size_y
      - .offset:         96
        .size:           2
        .value_kind:     hidden_group_size_z
      - .offset:         98
        .size:           2
        .value_kind:     hidden_remainder_x
      - .offset:         100
        .size:           2
        .value_kind:     hidden_remainder_y
      - .offset:         102
        .size:           2
        .value_kind:     hidden_remainder_z
      - .offset:         120
        .size:           8
        .value_kind:     hidden_global_offset_x
      - .offset:         128
        .size:           8
        .value_kind:     hidden_global_offset_y
      - .offset:         136
        .size:           8
        .value_kind:     hidden_global_offset_z
      - .offset:         144
        .size:           2
        .value_kind:     hidden_grid_dims
    .group_segment_fixed_size: 0
    .kernarg_segment_align: 8
    .kernarg_segment_size: 336
    .language:       OpenCL C
    .language_version:
      - 2
      - 0
    .max_flat_workgroup_size: 1024
    .name:           _ZL16dequantize_blockILi32ELi2EXadL_ZL15dequantize_q4_0PKvliR15HIP_vector_typeIfLj2EEEE14__hip_bfloat16EvS1_PT2_lllS2_IjLj3EElll
    .private_segment_fixed_size: 0
    .sgpr_count:     48
    .sgpr_spill_count: 0
    .symbol:         _ZL16dequantize_blockILi32ELi2EXadL_ZL15dequantize_q4_0PKvliR15HIP_vector_typeIfLj2EEEE14__hip_bfloat16EvS1_PT2_lllS2_IjLj3EElll.kd
    .uniform_work_group_size: 1
    .uses_dynamic_stack: false
    .vgpr_count:     14
    .vgpr_spill_count: 0
    .wavefront_size: 32
  - .args:
      - .actual_access:  read_only
        .address_space:  global
        .offset:         0
        .size:           8
        .value_kind:     global_buffer
      - .actual_access:  write_only
        .address_space:  global
        .offset:         8
        .size:           8
        .value_kind:     global_buffer
      - .offset:         16
        .size:           8
        .value_kind:     by_value
      - .offset:         24
        .size:           8
        .value_kind:     by_value
      - .offset:         32
        .size:           8
        .value_kind:     by_value
      - .offset:         40
        .size:           12
        .value_kind:     by_value
      - .offset:         56
        .size:           8
        .value_kind:     by_value
      - .offset:         64
        .size:           8
        .value_kind:     by_value
      - .offset:         72
        .size:           8
        .value_kind:     by_value
      - .offset:         80
        .size:           4
        .value_kind:     hidden_block_count_x
      - .offset:         84
        .size:           4
        .value_kind:     hidden_block_count_y
      - .offset:         88
        .size:           4
        .value_kind:     hidden_block_count_z
      - .offset:         92
        .size:           2
        .value_kind:     hidden_group_size_x
      - .offset:         94
        .size:           2
        .value_kind:     hidden_group_size_y
      - .offset:         96
        .size:           2
        .value_kind:     hidden_group_size_z
      - .offset:         98
        .size:           2
        .value_kind:     hidden_remainder_x
      - .offset:         100
        .size:           2
        .value_kind:     hidden_remainder_y
      - .offset:         102
        .size:           2
        .value_kind:     hidden_remainder_z
      - .offset:         120
        .size:           8
        .value_kind:     hidden_global_offset_x
      - .offset:         128
        .size:           8
        .value_kind:     hidden_global_offset_y
      - .offset:         136
        .size:           8
        .value_kind:     hidden_global_offset_z
      - .offset:         144
        .size:           2
        .value_kind:     hidden_grid_dims
    .group_segment_fixed_size: 0
    .kernarg_segment_align: 8
    .kernarg_segment_size: 336
    .language:       OpenCL C
    .language_version:
      - 2
      - 0
    .max_flat_workgroup_size: 1024
    .name:           _ZL16dequantize_blockILi32ELi2EXadL_ZL15dequantize_q4_1PKvliR15HIP_vector_typeIfLj2EEEE14__hip_bfloat16EvS1_PT2_lllS2_IjLj3EElll
    .private_segment_fixed_size: 0
    .sgpr_count:     48
    .sgpr_spill_count: 0
    .symbol:         _ZL16dequantize_blockILi32ELi2EXadL_ZL15dequantize_q4_1PKvliR15HIP_vector_typeIfLj2EEEE14__hip_bfloat16EvS1_PT2_lllS2_IjLj3EElll.kd
    .uniform_work_group_size: 1
    .uses_dynamic_stack: false
    .vgpr_count:     14
    .vgpr_spill_count: 0
    .wavefront_size: 32
  - .args:
      - .actual_access:  read_only
        .address_space:  global
        .offset:         0
        .size:           8
        .value_kind:     global_buffer
      - .actual_access:  write_only
        .address_space:  global
        .offset:         8
        .size:           8
        .value_kind:     global_buffer
      - .offset:         16
        .size:           8
        .value_kind:     by_value
      - .offset:         24
        .size:           8
        .value_kind:     by_value
      - .offset:         32
        .size:           8
        .value_kind:     by_value
      - .offset:         40
        .size:           12
        .value_kind:     by_value
      - .offset:         56
        .size:           8
        .value_kind:     by_value
      - .offset:         64
        .size:           8
        .value_kind:     by_value
      - .offset:         72
        .size:           8
        .value_kind:     by_value
      - .offset:         80
        .size:           4
        .value_kind:     hidden_block_count_x
      - .offset:         84
        .size:           4
        .value_kind:     hidden_block_count_y
      - .offset:         88
        .size:           4
        .value_kind:     hidden_block_count_z
      - .offset:         92
        .size:           2
        .value_kind:     hidden_group_size_x
      - .offset:         94
        .size:           2
        .value_kind:     hidden_group_size_y
      - .offset:         96
        .size:           2
        .value_kind:     hidden_group_size_z
      - .offset:         98
        .size:           2
        .value_kind:     hidden_remainder_x
      - .offset:         100
        .size:           2
        .value_kind:     hidden_remainder_y
      - .offset:         102
        .size:           2
        .value_kind:     hidden_remainder_z
      - .offset:         120
        .size:           8
        .value_kind:     hidden_global_offset_x
      - .offset:         128
        .size:           8
        .value_kind:     hidden_global_offset_y
      - .offset:         136
        .size:           8
        .value_kind:     hidden_global_offset_z
      - .offset:         144
        .size:           2
        .value_kind:     hidden_grid_dims
    .group_segment_fixed_size: 0
    .kernarg_segment_align: 8
    .kernarg_segment_size: 336
    .language:       OpenCL C
    .language_version:
      - 2
      - 0
    .max_flat_workgroup_size: 1024
    .name:           _ZL16dequantize_blockILi32ELi2EXadL_ZL15dequantize_q5_0PKvliR15HIP_vector_typeIfLj2EEEE14__hip_bfloat16EvS1_PT2_lllS2_IjLj3EElll
    .private_segment_fixed_size: 0
    .sgpr_count:     48
    .sgpr_spill_count: 0
    .symbol:         _ZL16dequantize_blockILi32ELi2EXadL_ZL15dequantize_q5_0PKvliR15HIP_vector_typeIfLj2EEEE14__hip_bfloat16EvS1_PT2_lllS2_IjLj3EElll.kd
    .uniform_work_group_size: 1
    .uses_dynamic_stack: false
    .vgpr_count:     16
    .vgpr_spill_count: 0
    .wavefront_size: 32
  - .args:
      - .actual_access:  read_only
        .address_space:  global
        .offset:         0
        .size:           8
        .value_kind:     global_buffer
      - .actual_access:  write_only
        .address_space:  global
        .offset:         8
        .size:           8
        .value_kind:     global_buffer
      - .offset:         16
        .size:           8
        .value_kind:     by_value
      - .offset:         24
        .size:           8
        .value_kind:     by_value
      - .offset:         32
        .size:           8
        .value_kind:     by_value
      - .offset:         40
        .size:           12
        .value_kind:     by_value
      - .offset:         56
        .size:           8
        .value_kind:     by_value
      - .offset:         64
        .size:           8
        .value_kind:     by_value
      - .offset:         72
        .size:           8
        .value_kind:     by_value
      - .offset:         80
        .size:           4
        .value_kind:     hidden_block_count_x
      - .offset:         84
        .size:           4
        .value_kind:     hidden_block_count_y
      - .offset:         88
        .size:           4
        .value_kind:     hidden_block_count_z
      - .offset:         92
        .size:           2
        .value_kind:     hidden_group_size_x
      - .offset:         94
        .size:           2
        .value_kind:     hidden_group_size_y
      - .offset:         96
        .size:           2
        .value_kind:     hidden_group_size_z
      - .offset:         98
        .size:           2
        .value_kind:     hidden_remainder_x
      - .offset:         100
        .size:           2
        .value_kind:     hidden_remainder_y
      - .offset:         102
        .size:           2
        .value_kind:     hidden_remainder_z
      - .offset:         120
        .size:           8
        .value_kind:     hidden_global_offset_x
      - .offset:         128
        .size:           8
        .value_kind:     hidden_global_offset_y
      - .offset:         136
        .size:           8
        .value_kind:     hidden_global_offset_z
      - .offset:         144
        .size:           2
        .value_kind:     hidden_grid_dims
    .group_segment_fixed_size: 0
    .kernarg_segment_align: 8
    .kernarg_segment_size: 336
    .language:       OpenCL C
    .language_version:
      - 2
      - 0
    .max_flat_workgroup_size: 1024
    .name:           _ZL16dequantize_blockILi32ELi2EXadL_ZL15dequantize_q5_1PKvliR15HIP_vector_typeIfLj2EEEE14__hip_bfloat16EvS1_PT2_lllS2_IjLj3EElll
    .private_segment_fixed_size: 0
    .sgpr_count:     48
    .sgpr_spill_count: 0
    .symbol:         _ZL16dequantize_blockILi32ELi2EXadL_ZL15dequantize_q5_1PKvliR15HIP_vector_typeIfLj2EEEE14__hip_bfloat16EvS1_PT2_lllS2_IjLj3EElll.kd
    .uniform_work_group_size: 1
    .uses_dynamic_stack: false
    .vgpr_count:     16
    .vgpr_spill_count: 0
    .wavefront_size: 32
  - .args:
      - .actual_access:  read_only
        .address_space:  global
        .offset:         0
        .size:           8
        .value_kind:     global_buffer
      - .actual_access:  write_only
        .address_space:  global
        .offset:         8
        .size:           8
        .value_kind:     global_buffer
      - .offset:         16
        .size:           8
        .value_kind:     by_value
      - .offset:         24
        .size:           8
        .value_kind:     by_value
      - .offset:         32
        .size:           8
        .value_kind:     by_value
      - .offset:         40
        .size:           12
        .value_kind:     by_value
      - .offset:         56
        .size:           8
        .value_kind:     by_value
      - .offset:         64
        .size:           8
        .value_kind:     by_value
      - .offset:         72
        .size:           8
        .value_kind:     by_value
      - .offset:         80
        .size:           4
        .value_kind:     hidden_block_count_x
      - .offset:         84
        .size:           4
        .value_kind:     hidden_block_count_y
      - .offset:         88
        .size:           4
        .value_kind:     hidden_block_count_z
      - .offset:         92
        .size:           2
        .value_kind:     hidden_group_size_x
      - .offset:         94
        .size:           2
        .value_kind:     hidden_group_size_y
      - .offset:         96
        .size:           2
        .value_kind:     hidden_group_size_z
      - .offset:         98
        .size:           2
        .value_kind:     hidden_remainder_x
      - .offset:         100
        .size:           2
        .value_kind:     hidden_remainder_y
      - .offset:         102
        .size:           2
        .value_kind:     hidden_remainder_z
      - .offset:         120
        .size:           8
        .value_kind:     hidden_global_offset_x
      - .offset:         128
        .size:           8
        .value_kind:     hidden_global_offset_y
      - .offset:         136
        .size:           8
        .value_kind:     hidden_global_offset_z
      - .offset:         144
        .size:           2
        .value_kind:     hidden_grid_dims
    .group_segment_fixed_size: 0
    .kernarg_segment_align: 8
    .kernarg_segment_size: 336
    .language:       OpenCL C
    .language_version:
      - 2
      - 0
    .max_flat_workgroup_size: 1024
    .name:           _ZL16dequantize_blockILi32ELi1EXadL_ZL15dequantize_q8_0PKvliR15HIP_vector_typeIfLj2EEEE14__hip_bfloat16EvS1_PT2_lllS2_IjLj3EElll
    .private_segment_fixed_size: 0
    .sgpr_count:     48
    .sgpr_spill_count: 0
    .symbol:         _ZL16dequantize_blockILi32ELi1EXadL_ZL15dequantize_q8_0PKvliR15HIP_vector_typeIfLj2EEEE14__hip_bfloat16EvS1_PT2_lllS2_IjLj3EElll.kd
    .uniform_work_group_size: 1
    .uses_dynamic_stack: false
    .vgpr_count:     14
    .vgpr_spill_count: 0
    .wavefront_size: 32
  - .args:
      - .actual_access:  read_only
        .address_space:  global
        .offset:         0
        .size:           8
        .value_kind:     global_buffer
      - .actual_access:  write_only
        .address_space:  global
        .offset:         8
        .size:           8
        .value_kind:     global_buffer
      - .offset:         16
        .size:           8
        .value_kind:     by_value
      - .offset:         24
        .size:           8
        .value_kind:     by_value
      - .offset:         32
        .size:           8
        .value_kind:     by_value
      - .offset:         40
        .size:           12
        .value_kind:     by_value
      - .offset:         56
        .size:           8
        .value_kind:     by_value
      - .offset:         64
        .size:           8
        .value_kind:     by_value
      - .offset:         72
        .size:           8
        .value_kind:     by_value
      - .offset:         80
        .size:           4
        .value_kind:     hidden_block_count_x
      - .offset:         84
        .size:           4
        .value_kind:     hidden_block_count_y
      - .offset:         88
        .size:           4
        .value_kind:     hidden_block_count_z
      - .offset:         92
        .size:           2
        .value_kind:     hidden_group_size_x
      - .offset:         94
        .size:           2
        .value_kind:     hidden_group_size_y
      - .offset:         96
        .size:           2
        .value_kind:     hidden_group_size_z
      - .offset:         98
        .size:           2
        .value_kind:     hidden_remainder_x
      - .offset:         100
        .size:           2
        .value_kind:     hidden_remainder_y
      - .offset:         102
        .size:           2
        .value_kind:     hidden_remainder_z
      - .offset:         120
        .size:           8
        .value_kind:     hidden_global_offset_x
      - .offset:         128
        .size:           8
        .value_kind:     hidden_global_offset_y
      - .offset:         136
        .size:           8
        .value_kind:     hidden_global_offset_z
      - .offset:         144
        .size:           2
        .value_kind:     hidden_grid_dims
    .group_segment_fixed_size: 0
    .kernarg_segment_align: 8
    .kernarg_segment_size: 336
    .language:       OpenCL C
    .language_version:
      - 2
      - 0
    .max_flat_workgroup_size: 1024
    .name:           _ZL13convert_unaryI6__half14__hip_bfloat16EvPKvPT0_lll15HIP_vector_typeIjLj3EElll
    .private_segment_fixed_size: 0
    .sgpr_count:     107
    .sgpr_spill_count: 48
    .symbol:         _ZL13convert_unaryI6__half14__hip_bfloat16EvPKvPT0_lll15HIP_vector_typeIjLj3EElll.kd
    .uniform_work_group_size: 1
    .uses_dynamic_stack: false
    .vgpr_count:     20
    .vgpr_spill_count: 0
    .wavefront_size: 32
  - .args:
      - .actual_access:  read_only
        .address_space:  global
        .offset:         0
        .size:           8
        .value_kind:     global_buffer
      - .actual_access:  write_only
        .address_space:  global
        .offset:         8
        .size:           8
        .value_kind:     global_buffer
      - .offset:         16
        .size:           8
        .value_kind:     by_value
      - .offset:         24
        .size:           8
        .value_kind:     by_value
      - .offset:         32
        .size:           8
        .value_kind:     by_value
      - .offset:         40
        .size:           12
        .value_kind:     by_value
      - .offset:         56
        .size:           8
        .value_kind:     by_value
      - .offset:         64
        .size:           8
        .value_kind:     by_value
      - .offset:         72
        .size:           8
        .value_kind:     by_value
      - .offset:         80
        .size:           4
        .value_kind:     hidden_block_count_x
      - .offset:         84
        .size:           4
        .value_kind:     hidden_block_count_y
      - .offset:         88
        .size:           4
        .value_kind:     hidden_block_count_z
      - .offset:         92
        .size:           2
        .value_kind:     hidden_group_size_x
      - .offset:         94
        .size:           2
        .value_kind:     hidden_group_size_y
      - .offset:         96
        .size:           2
        .value_kind:     hidden_group_size_z
      - .offset:         98
        .size:           2
        .value_kind:     hidden_remainder_x
      - .offset:         100
        .size:           2
        .value_kind:     hidden_remainder_y
      - .offset:         102
        .size:           2
        .value_kind:     hidden_remainder_z
      - .offset:         120
        .size:           8
        .value_kind:     hidden_global_offset_x
      - .offset:         128
        .size:           8
        .value_kind:     hidden_global_offset_y
      - .offset:         136
        .size:           8
        .value_kind:     hidden_global_offset_z
      - .offset:         144
        .size:           2
        .value_kind:     hidden_grid_dims
    .group_segment_fixed_size: 0
    .kernarg_segment_align: 8
    .kernarg_segment_size: 336
    .language:       OpenCL C
    .language_version:
      - 2
      - 0
    .max_flat_workgroup_size: 1024
    .name:           _ZL13convert_unaryI6__halffEvPKvPT0_lll15HIP_vector_typeIjLj3EElll
    .private_segment_fixed_size: 0
    .sgpr_count:     94
    .sgpr_spill_count: 0
    .symbol:         _ZL13convert_unaryI6__halffEvPKvPT0_lll15HIP_vector_typeIjLj3EElll.kd
    .uniform_work_group_size: 1
    .uses_dynamic_stack: false
    .vgpr_count:     12
    .vgpr_spill_count: 0
    .wavefront_size: 32
  - .args:
      - .actual_access:  read_only
        .address_space:  global
        .offset:         0
        .size:           8
        .value_kind:     global_buffer
      - .actual_access:  write_only
        .address_space:  global
        .offset:         8
        .size:           8
        .value_kind:     global_buffer
      - .offset:         16
        .size:           8
        .value_kind:     by_value
      - .offset:         24
        .size:           8
        .value_kind:     by_value
      - .offset:         32
        .size:           8
        .value_kind:     by_value
      - .offset:         40
        .size:           12
        .value_kind:     by_value
      - .offset:         56
        .size:           8
        .value_kind:     by_value
      - .offset:         64
        .size:           8
        .value_kind:     by_value
      - .offset:         72
        .size:           8
        .value_kind:     by_value
      - .offset:         80
        .size:           4
        .value_kind:     hidden_block_count_x
      - .offset:         84
        .size:           4
        .value_kind:     hidden_block_count_y
      - .offset:         88
        .size:           4
        .value_kind:     hidden_block_count_z
      - .offset:         92
        .size:           2
        .value_kind:     hidden_group_size_x
      - .offset:         94
        .size:           2
        .value_kind:     hidden_group_size_y
      - .offset:         96
        .size:           2
        .value_kind:     hidden_group_size_z
      - .offset:         98
        .size:           2
        .value_kind:     hidden_remainder_x
      - .offset:         100
        .size:           2
        .value_kind:     hidden_remainder_y
      - .offset:         102
        .size:           2
        .value_kind:     hidden_remainder_z
      - .offset:         120
        .size:           8
        .value_kind:     hidden_global_offset_x
      - .offset:         128
        .size:           8
        .value_kind:     hidden_global_offset_y
      - .offset:         136
        .size:           8
        .value_kind:     hidden_global_offset_z
      - .offset:         144
        .size:           2
        .value_kind:     hidden_grid_dims
    .group_segment_fixed_size: 0
    .kernarg_segment_align: 8
    .kernarg_segment_size: 336
    .language:       OpenCL C
    .language_version:
      - 2
      - 0
    .max_flat_workgroup_size: 1024
    .name:           _ZL16dequantize_blockILi128ELi1EXadL_ZL15dequantize_q1_0PKvliR15HIP_vector_typeIfLj2EEEEfEvS1_PT2_lllS2_IjLj3EElll
    .private_segment_fixed_size: 0
    .sgpr_count:     48
    .sgpr_spill_count: 0
    .symbol:         _ZL16dequantize_blockILi128ELi1EXadL_ZL15dequantize_q1_0PKvliR15HIP_vector_typeIfLj2EEEEfEvS1_PT2_lllS2_IjLj3EElll.kd
    .uniform_work_group_size: 1
    .uses_dynamic_stack: false
    .vgpr_count:     16
    .vgpr_spill_count: 0
    .wavefront_size: 32
  - .args:
      - .actual_access:  read_only
        .address_space:  global
        .offset:         0
        .size:           8
        .value_kind:     global_buffer
      - .actual_access:  write_only
        .address_space:  global
        .offset:         8
        .size:           8
        .value_kind:     global_buffer
      - .offset:         16
        .size:           8
        .value_kind:     by_value
      - .offset:         24
        .size:           8
        .value_kind:     by_value
      - .offset:         32
        .size:           8
        .value_kind:     by_value
      - .offset:         40
        .size:           12
        .value_kind:     by_value
      - .offset:         56
        .size:           8
        .value_kind:     by_value
      - .offset:         64
        .size:           8
        .value_kind:     by_value
      - .offset:         72
        .size:           8
        .value_kind:     by_value
      - .offset:         80
        .size:           4
        .value_kind:     hidden_block_count_x
      - .offset:         84
        .size:           4
        .value_kind:     hidden_block_count_y
      - .offset:         88
        .size:           4
        .value_kind:     hidden_block_count_z
      - .offset:         92
        .size:           2
        .value_kind:     hidden_group_size_x
      - .offset:         94
        .size:           2
        .value_kind:     hidden_group_size_y
      - .offset:         96
        .size:           2
        .value_kind:     hidden_group_size_z
      - .offset:         98
        .size:           2
        .value_kind:     hidden_remainder_x
      - .offset:         100
        .size:           2
        .value_kind:     hidden_remainder_y
      - .offset:         102
        .size:           2
        .value_kind:     hidden_remainder_z
      - .offset:         120
        .size:           8
        .value_kind:     hidden_global_offset_x
      - .offset:         128
        .size:           8
        .value_kind:     hidden_global_offset_y
      - .offset:         136
        .size:           8
        .value_kind:     hidden_global_offset_z
      - .offset:         144
        .size:           2
        .value_kind:     hidden_grid_dims
    .group_segment_fixed_size: 0
    .kernarg_segment_align: 8
    .kernarg_segment_size: 336
    .language:       OpenCL C
    .language_version:
      - 2
      - 0
    .max_flat_workgroup_size: 1024
    .name:           _ZL16dequantize_blockILi32ELi2EXadL_ZL15dequantize_q4_0PKvliR15HIP_vector_typeIfLj2EEEEfEvS1_PT2_lllS2_IjLj3EElll
    .private_segment_fixed_size: 0
    .sgpr_count:     48
    .sgpr_spill_count: 0
    .symbol:         _ZL16dequantize_blockILi32ELi2EXadL_ZL15dequantize_q4_0PKvliR15HIP_vector_typeIfLj2EEEEfEvS1_PT2_lllS2_IjLj3EElll.kd
    .uniform_work_group_size: 1
    .uses_dynamic_stack: false
    .vgpr_count:     14
    .vgpr_spill_count: 0
    .wavefront_size: 32
  - .args:
      - .actual_access:  read_only
        .address_space:  global
        .offset:         0
        .size:           8
        .value_kind:     global_buffer
      - .actual_access:  write_only
        .address_space:  global
        .offset:         8
        .size:           8
        .value_kind:     global_buffer
      - .offset:         16
        .size:           8
        .value_kind:     by_value
      - .offset:         24
        .size:           8
        .value_kind:     by_value
      - .offset:         32
        .size:           8
        .value_kind:     by_value
      - .offset:         40
        .size:           12
        .value_kind:     by_value
      - .offset:         56
        .size:           8
        .value_kind:     by_value
      - .offset:         64
        .size:           8
        .value_kind:     by_value
      - .offset:         72
        .size:           8
        .value_kind:     by_value
      - .offset:         80
        .size:           4
        .value_kind:     hidden_block_count_x
      - .offset:         84
        .size:           4
        .value_kind:     hidden_block_count_y
      - .offset:         88
        .size:           4
        .value_kind:     hidden_block_count_z
      - .offset:         92
        .size:           2
        .value_kind:     hidden_group_size_x
      - .offset:         94
        .size:           2
        .value_kind:     hidden_group_size_y
      - .offset:         96
        .size:           2
        .value_kind:     hidden_group_size_z
      - .offset:         98
        .size:           2
        .value_kind:     hidden_remainder_x
      - .offset:         100
        .size:           2
        .value_kind:     hidden_remainder_y
      - .offset:         102
        .size:           2
        .value_kind:     hidden_remainder_z
      - .offset:         120
        .size:           8
        .value_kind:     hidden_global_offset_x
      - .offset:         128
        .size:           8
        .value_kind:     hidden_global_offset_y
      - .offset:         136
        .size:           8
        .value_kind:     hidden_global_offset_z
      - .offset:         144
        .size:           2
        .value_kind:     hidden_grid_dims
    .group_segment_fixed_size: 0
    .kernarg_segment_align: 8
    .kernarg_segment_size: 336
    .language:       OpenCL C
    .language_version:
      - 2
      - 0
    .max_flat_workgroup_size: 1024
    .name:           _ZL16dequantize_blockILi32ELi2EXadL_ZL15dequantize_q4_1PKvliR15HIP_vector_typeIfLj2EEEEfEvS1_PT2_lllS2_IjLj3EElll
    .private_segment_fixed_size: 0
    .sgpr_count:     48
    .sgpr_spill_count: 0
    .symbol:         _ZL16dequantize_blockILi32ELi2EXadL_ZL15dequantize_q4_1PKvliR15HIP_vector_typeIfLj2EEEEfEvS1_PT2_lllS2_IjLj3EElll.kd
    .uniform_work_group_size: 1
    .uses_dynamic_stack: false
    .vgpr_count:     14
    .vgpr_spill_count: 0
    .wavefront_size: 32
  - .args:
      - .actual_access:  read_only
        .address_space:  global
        .offset:         0
        .size:           8
        .value_kind:     global_buffer
      - .actual_access:  write_only
        .address_space:  global
        .offset:         8
        .size:           8
        .value_kind:     global_buffer
      - .offset:         16
        .size:           8
        .value_kind:     by_value
      - .offset:         24
        .size:           8
        .value_kind:     by_value
      - .offset:         32
        .size:           8
        .value_kind:     by_value
      - .offset:         40
        .size:           12
        .value_kind:     by_value
      - .offset:         56
        .size:           8
        .value_kind:     by_value
      - .offset:         64
        .size:           8
        .value_kind:     by_value
      - .offset:         72
        .size:           8
        .value_kind:     by_value
      - .offset:         80
        .size:           4
        .value_kind:     hidden_block_count_x
      - .offset:         84
        .size:           4
        .value_kind:     hidden_block_count_y
      - .offset:         88
        .size:           4
        .value_kind:     hidden_block_count_z
      - .offset:         92
        .size:           2
        .value_kind:     hidden_group_size_x
      - .offset:         94
        .size:           2
        .value_kind:     hidden_group_size_y
      - .offset:         96
        .size:           2
        .value_kind:     hidden_group_size_z
      - .offset:         98
        .size:           2
        .value_kind:     hidden_remainder_x
      - .offset:         100
        .size:           2
        .value_kind:     hidden_remainder_y
      - .offset:         102
        .size:           2
        .value_kind:     hidden_remainder_z
      - .offset:         120
        .size:           8
        .value_kind:     hidden_global_offset_x
      - .offset:         128
        .size:           8
        .value_kind:     hidden_global_offset_y
      - .offset:         136
        .size:           8
        .value_kind:     hidden_global_offset_z
      - .offset:         144
        .size:           2
        .value_kind:     hidden_grid_dims
    .group_segment_fixed_size: 0
    .kernarg_segment_align: 8
    .kernarg_segment_size: 336
    .language:       OpenCL C
    .language_version:
      - 2
      - 0
    .max_flat_workgroup_size: 1024
    .name:           _ZL16dequantize_blockILi32ELi2EXadL_ZL15dequantize_q5_0PKvliR15HIP_vector_typeIfLj2EEEEfEvS1_PT2_lllS2_IjLj3EElll
    .private_segment_fixed_size: 0
    .sgpr_count:     48
    .sgpr_spill_count: 0
    .symbol:         _ZL16dequantize_blockILi32ELi2EXadL_ZL15dequantize_q5_0PKvliR15HIP_vector_typeIfLj2EEEEfEvS1_PT2_lllS2_IjLj3EElll.kd
    .uniform_work_group_size: 1
    .uses_dynamic_stack: false
    .vgpr_count:     16
    .vgpr_spill_count: 0
    .wavefront_size: 32
  - .args:
      - .actual_access:  read_only
        .address_space:  global
        .offset:         0
        .size:           8
        .value_kind:     global_buffer
      - .actual_access:  write_only
        .address_space:  global
        .offset:         8
        .size:           8
        .value_kind:     global_buffer
      - .offset:         16
        .size:           8
        .value_kind:     by_value
      - .offset:         24
        .size:           8
        .value_kind:     by_value
      - .offset:         32
        .size:           8
        .value_kind:     by_value
      - .offset:         40
        .size:           12
        .value_kind:     by_value
      - .offset:         56
        .size:           8
        .value_kind:     by_value
      - .offset:         64
        .size:           8
        .value_kind:     by_value
      - .offset:         72
        .size:           8
        .value_kind:     by_value
      - .offset:         80
        .size:           4
        .value_kind:     hidden_block_count_x
      - .offset:         84
        .size:           4
        .value_kind:     hidden_block_count_y
      - .offset:         88
        .size:           4
        .value_kind:     hidden_block_count_z
      - .offset:         92
        .size:           2
        .value_kind:     hidden_group_size_x
      - .offset:         94
        .size:           2
        .value_kind:     hidden_group_size_y
      - .offset:         96
        .size:           2
        .value_kind:     hidden_group_size_z
      - .offset:         98
        .size:           2
        .value_kind:     hidden_remainder_x
      - .offset:         100
        .size:           2
        .value_kind:     hidden_remainder_y
      - .offset:         102
        .size:           2
        .value_kind:     hidden_remainder_z
      - .offset:         120
        .size:           8
        .value_kind:     hidden_global_offset_x
      - .offset:         128
        .size:           8
        .value_kind:     hidden_global_offset_y
      - .offset:         136
        .size:           8
        .value_kind:     hidden_global_offset_z
      - .offset:         144
        .size:           2
        .value_kind:     hidden_grid_dims
    .group_segment_fixed_size: 0
    .kernarg_segment_align: 8
    .kernarg_segment_size: 336
    .language:       OpenCL C
    .language_version:
      - 2
      - 0
    .max_flat_workgroup_size: 1024
    .name:           _ZL16dequantize_blockILi32ELi2EXadL_ZL15dequantize_q5_1PKvliR15HIP_vector_typeIfLj2EEEEfEvS1_PT2_lllS2_IjLj3EElll
    .private_segment_fixed_size: 0
    .sgpr_count:     48
    .sgpr_spill_count: 0
    .symbol:         _ZL16dequantize_blockILi32ELi2EXadL_ZL15dequantize_q5_1PKvliR15HIP_vector_typeIfLj2EEEEfEvS1_PT2_lllS2_IjLj3EElll.kd
    .uniform_work_group_size: 1
    .uses_dynamic_stack: false
    .vgpr_count:     16
    .vgpr_spill_count: 0
    .wavefront_size: 32
  - .args:
      - .actual_access:  read_only
        .address_space:  global
        .offset:         0
        .size:           8
        .value_kind:     global_buffer
      - .actual_access:  write_only
        .address_space:  global
        .offset:         8
        .size:           8
        .value_kind:     global_buffer
      - .offset:         16
        .size:           8
        .value_kind:     by_value
      - .offset:         24
        .size:           8
        .value_kind:     by_value
      - .offset:         32
        .size:           8
        .value_kind:     by_value
      - .offset:         40
        .size:           12
        .value_kind:     by_value
      - .offset:         56
        .size:           8
        .value_kind:     by_value
      - .offset:         64
        .size:           8
        .value_kind:     by_value
      - .offset:         72
        .size:           8
        .value_kind:     by_value
      - .offset:         80
        .size:           4
        .value_kind:     hidden_block_count_x
      - .offset:         84
        .size:           4
        .value_kind:     hidden_block_count_y
      - .offset:         88
        .size:           4
        .value_kind:     hidden_block_count_z
      - .offset:         92
        .size:           2
        .value_kind:     hidden_group_size_x
      - .offset:         94
        .size:           2
        .value_kind:     hidden_group_size_y
      - .offset:         96
        .size:           2
        .value_kind:     hidden_group_size_z
      - .offset:         98
        .size:           2
        .value_kind:     hidden_remainder_x
      - .offset:         100
        .size:           2
        .value_kind:     hidden_remainder_y
      - .offset:         102
        .size:           2
        .value_kind:     hidden_remainder_z
      - .offset:         120
        .size:           8
        .value_kind:     hidden_global_offset_x
      - .offset:         128
        .size:           8
        .value_kind:     hidden_global_offset_y
      - .offset:         136
        .size:           8
        .value_kind:     hidden_global_offset_z
      - .offset:         144
        .size:           2
        .value_kind:     hidden_grid_dims
    .group_segment_fixed_size: 0
    .kernarg_segment_align: 8
    .kernarg_segment_size: 336
    .language:       OpenCL C
    .language_version:
      - 2
      - 0
    .max_flat_workgroup_size: 1024
    .name:           _ZL16dequantize_blockILi32ELi1EXadL_ZL15dequantize_q8_0PKvliR15HIP_vector_typeIfLj2EEEEfEvS1_PT2_lllS2_IjLj3EElll
    .private_segment_fixed_size: 0
    .sgpr_count:     48
    .sgpr_spill_count: 0
    .symbol:         _ZL16dequantize_blockILi32ELi1EXadL_ZL15dequantize_q8_0PKvliR15HIP_vector_typeIfLj2EEEEfEvS1_PT2_lllS2_IjLj3EElll.kd
    .uniform_work_group_size: 1
    .uses_dynamic_stack: false
    .vgpr_count:     14
    .vgpr_spill_count: 0
    .wavefront_size: 32
  - .args:
      - .actual_access:  read_only
        .address_space:  global
        .offset:         0
        .size:           8
        .value_kind:     global_buffer
      - .actual_access:  write_only
        .address_space:  global
        .offset:         8
        .size:           8
        .value_kind:     global_buffer
      - .offset:         16
        .size:           8
        .value_kind:     by_value
      - .offset:         24
        .size:           8
        .value_kind:     by_value
      - .offset:         32
        .size:           8
        .value_kind:     by_value
      - .offset:         40
        .size:           12
        .value_kind:     by_value
      - .offset:         56
        .size:           8
        .value_kind:     by_value
      - .offset:         64
        .size:           8
        .value_kind:     by_value
      - .offset:         72
        .size:           8
        .value_kind:     by_value
      - .offset:         80
        .size:           4
        .value_kind:     hidden_block_count_x
      - .offset:         84
        .size:           4
        .value_kind:     hidden_block_count_y
      - .offset:         88
        .size:           4
        .value_kind:     hidden_block_count_z
      - .offset:         92
        .size:           2
        .value_kind:     hidden_group_size_x
      - .offset:         94
        .size:           2
        .value_kind:     hidden_group_size_y
      - .offset:         96
        .size:           2
        .value_kind:     hidden_group_size_z
      - .offset:         98
        .size:           2
        .value_kind:     hidden_remainder_x
      - .offset:         100
        .size:           2
        .value_kind:     hidden_remainder_y
      - .offset:         102
        .size:           2
        .value_kind:     hidden_remainder_z
      - .offset:         120
        .size:           8
        .value_kind:     hidden_global_offset_x
      - .offset:         128
        .size:           8
        .value_kind:     hidden_global_offset_y
      - .offset:         136
        .size:           8
        .value_kind:     hidden_global_offset_z
      - .offset:         144
        .size:           2
        .value_kind:     hidden_grid_dims
    .group_segment_fixed_size: 0
    .kernarg_segment_align: 8
    .kernarg_segment_size: 336
    .language:       OpenCL C
    .language_version:
      - 2
      - 0
    .max_flat_workgroup_size: 1024
    .name:           _ZL13convert_unaryI14__hip_bfloat16fEvPKvPT0_lll15HIP_vector_typeIjLj3EElll
    .private_segment_fixed_size: 0
    .sgpr_count:     94
    .sgpr_spill_count: 0
    .symbol:         _ZL13convert_unaryI14__hip_bfloat16fEvPKvPT0_lll15HIP_vector_typeIjLj3EElll.kd
    .uniform_work_group_size: 1
    .uses_dynamic_stack: false
    .vgpr_count:     12
    .vgpr_spill_count: 0
    .wavefront_size: 32
amdhsa.target:   amdgcn-amd-amdhsa--gfx1250
amdhsa.version:
  - 1
  - 2
...

	.end_amdgpu_metadata
